;; amdgpu-corpus repo=ROCm/aiter kind=harvested arch=n/a opt=n/a

/root/src/amdgpu-assembly/repos/ROCm__aiter/hsa/gfx950/fmoe/gelu/fmoe_bf16_blockscaleFp8_g1u1_vs_gelu_1tg_ps_32x128.co:	file format elf64-amdgpu

Disassembly of section .text:

0000000000002e00 <_ZN5aiter44fmoe_bf16_blockscaleBf16_g1u1_ps_gelu_32x128E>:
	v_lshrrev_b32_e32 v1, 10, v0                               // 000000002E00: 2002008A
	v_lshrrev_b32_e32 v2, 10, v1                               // 000000002E04: 2004028A
	v_and_b32_e32 v2, 0x3ff, v2                                // 000000002E08: 260404FF 000003FF
	v_and_b32_e32 v1, 0x3ff, v1                                // 000000002E10: 260202FF 000003FF
	v_and_b32_e32 v0, 0x3ff, v0                                // 000000002E18: 260000FF 000003FF
	v_lshrrev_b32_e32 v3, 6, v0                                // 000000002E20: 20060086
	v_and_b32_e32 v0, 63, v0                                   // 000000002E24: 260000BF
	s_mov_b32 s2, s2                                           // 000000002E28: BE820002
	s_mov_b32 s3, s3                                           // 000000002E2C: BE830003
	s_mov_b32 s4, s4                                           // 000000002E30: BE840004
	s_mov_b32 s99, s2                                          // 000000002E34: BEE30002
	v_readfirstlane_b32 s7, v3                                 // 000000002E38: 7E0E0503
	s_and_b32 s1, s1, 0xffff                                   // 000000002E3C: 8601FF01 0000FFFF
	s_mov_b32 s96, 0                                           // 000000002E44: BEE00080
	s_mov_b32 s97, 0                                           // 000000002E48: BEE10080
	s_mov_b32 s100, 0                                          // 000000002E4C: BEE40080
	s_load_dword s96, s[0:1], 0x1a0                            // 000000002E50: C0021800 000001A0
	s_load_dword s97, s[0:1], 0x1b0                            // 000000002E58: C0021840 000001B0
	s_waitcnt lgkmcnt(0)                                       // 000000002E60: BF8CC07F
	s_cmp_eq_u32 s96, 0                                        // 000000002E64: BF068060
	s_cbranch_scc1 label_005C                                  // 000000002E68: BF850041
	v_cvt_f32_u32_e32 v44, s97                                 // 000000002E6C: 7E580C61
	s_sub_i32 s60, 0, s97                                      // 000000002E70: 81BC6180
	v_rcp_iflag_f32_e32 v44, v44                               // 000000002E74: 7E58472C
	s_nop 0                                                    // 000000002E78: BF800000
	v_mul_f32_e32 v44, 0x4f7ffffe, v44                         // 000000002E7C: 0A5858FF 4F7FFFFE
	v_cvt_u32_f32_e32 v44, v44                                 // 000000002E84: 7E580F2C
	v_mul_lo_u32 v45, s60, v44                                 // 000000002E88: D285002D 0002583C
	v_mul_hi_u32 v45, v44, v45                                 // 000000002E90: D286002D 00025B2C
	v_add_u32_e32 v44, v44, v45                                // 000000002E98: 68585B2C
	v_mul_hi_u32 v44, s96, v44                                 // 000000002E9C: D286002C 00025860
	v_mul_lo_u32 v45, v44, s97                                 // 000000002EA4: D285002D 0000C32C
	v_sub_u32_e32 v47, s96, v45                                // 000000002EAC: 6A5E5A60
	v_add_u32_e32 v46, 1, v44                                  // 000000002EB0: 685C5881
	v_cmp_le_u32_e32 vcc, s97, v47                             // 000000002EB4: 7D965E61
	v_subrev_u32_e32 v45, s97, v47                             // 000000002EB8: 6C5A5E61
	s_nop 0                                                    // 000000002EBC: BF800000
	v_cndmask_b32_e32 v44, v44, v46, vcc                       // 000000002EC0: 00585D2C
	v_cndmask_b32_e32 v47, v47, v45, vcc                       // 000000002EC4: 005E5B2F
	v_add_u32_e32 v45, 1, v44                                  // 000000002EC8: 685A5881
	v_cmp_le_u32_e32 vcc, s97, v47                             // 000000002ECC: 7D965E61
	s_nop 1                                                    // 000000002ED0: BF800001
	v_cndmask_b32_e32 v47, v44, v45, vcc                       // 000000002ED4: 005E5B2C
	s_nop 3                                                    // 000000002ED8: BF800003
	v_readfirstlane_b32 s98, v47                               // 000000002EDC: 7EC4052F
	s_nop 3                                                    // 000000002EE0: BF800003

0000000000002ee4 <label_0039>:
	s_mov_b32 s4, 1                                            // 000000002EE4: BE840081
	v_cvt_f32_u32_e32 v44, s97                                 // 000000002EE8: 7E580C61
	s_sub_i32 s60, 0, s97                                      // 000000002EEC: 81BC6180
	v_rcp_iflag_f32_e32 v44, v44                               // 000000002EF0: 7E58472C
	s_nop 0                                                    // 000000002EF4: BF800000
	v_mul_f32_e32 v44, 0x4f7ffffe, v44                         // 000000002EF8: 0A5858FF 4F7FFFFE
	v_cvt_u32_f32_e32 v44, v44                                 // 000000002F00: 7E580F2C
	v_mul_lo_u32 v45, s60, v44                                 // 000000002F04: D285002D 0002583C
	v_mul_hi_u32 v45, v44, v45                                 // 000000002F0C: D286002D 00025B2C
	v_add_u32_e32 v44, v44, v45                                // 000000002F14: 68585B2C
	v_mul_hi_u32 v44, s99, v44                                 // 000000002F18: D286002C 00025863
	v_mul_lo_u32 v45, v44, s97                                 // 000000002F20: D285002D 0000C32C
	v_sub_u32_e32 v47, s99, v45                                // 000000002F28: 6A5E5A63
	v_add_u32_e32 v46, 1, v44                                  // 000000002F2C: 685C5881
	v_cmp_le_u32_e32 vcc, s97, v47                             // 000000002F30: 7D965E61
	v_subrev_u32_e32 v45, s97, v47                             // 000000002F34: 6C5A5E61
	s_nop 0                                                    // 000000002F38: BF800000
	v_cndmask_b32_e32 v44, v44, v46, vcc                       // 000000002F3C: 00585D2C
	v_cndmask_b32_e32 v47, v47, v45, vcc                       // 000000002F40: 005E5B2F
	v_add_u32_e32 v45, 1, v44                                  // 000000002F44: 685A5881
	v_cmp_le_u32_e32 vcc, s97, v47                             // 000000002F48: 7D965E61
	s_nop 1                                                    // 000000002F4C: BF800001
	v_cndmask_b32_e32 v47, v44, v45, vcc                       // 000000002F50: 005E5B2C
	s_nop 3                                                    // 000000002F54: BF800003
	v_readfirstlane_b32 s3, v47                                // 000000002F58: 7E06052F
	s_nop 3                                                    // 000000002F5C: BF800003
	s_mul_i32 s60, s3, s97                                     // 000000002F60: 923C6103
	s_sub_u32 s2, s99, s60                                     // 000000002F64: 80823C63
	s_mul_i32 s60, s98, s100                                   // 000000002F68: 923C6462
	s_add_i32 s3, s3, s60                                      // 000000002F6C: 81033C03

0000000000002f70 <label_005C>:
	s_and_b32 s1, s1, 0xffff                                   // 000000002F70: 8601FF01 0000FFFF
	s_load_dwordx2 s[8:9], s[0:1], 0x0                         // 000000002F78: C0060200 00000000
	s_load_dwordx2 s[20:21], s[0:1], 0x10                      // 000000002F80: C0060500 00000010
	s_load_dwordx2 s[24:25], s[0:1], 0x20                      // 000000002F88: C0060600 00000020
	s_load_dwordx2 s[50:51], s[0:1], 0x30                      // 000000002F90: C0060C80 00000030
	s_load_dwordx2 s[12:13], s[0:1], 0x40                      // 000000002F98: C0060300 00000040
	s_load_dwordx2 s[28:29], s[0:1], 0x50                      // 000000002FA0: C0060700 00000050
	s_load_dwordx2 s[32:33], s[0:1], 0x60                      // 000000002FA8: C0060800 00000060
	s_load_dwordx2 s[16:17], s[0:1], 0x70                      // 000000002FB0: C0060400 00000070
	s_load_dwordx2 s[36:37], s[0:1], 0x80                      // 000000002FB8: C0060900 00000080
	s_load_dwordx2 s[44:45], s[0:1], 0x90                      // 000000002FC0: C0060B00 00000090
	s_load_dwordx2 s[40:41], s[0:1], 0xa0                      // 000000002FC8: C0060A00 000000A0
	s_load_dwordx2 s[46:47], s[0:1], 0xb0                      // 000000002FD0: C0060B80 000000B0
	s_load_dword s64, s[0:1], 0xc0                             // 000000002FD8: C0021000 000000C0
	s_load_dword s65, s[0:1], 0xd0                             // 000000002FE0: C0021040 000000D0
	s_load_dword s67, s[0:1], 0xf0                             // 000000002FE8: C00210C0 000000F0
	s_load_dword s68, s[0:1], 0x100                            // 000000002FF0: C0021100 00000100
	s_load_dword s69, s[0:1], 0x110                            // 000000002FF8: C0021140 00000110
	s_load_dword s70, s[0:1], 0x120                            // 000000003000: C0021180 00000120
	s_load_dword s71, s[0:1], 0x130                            // 000000003008: C00211C0 00000130
	s_load_dword s72, s[0:1], 0x140                            // 000000003010: C0021200 00000140
	s_load_dword s73, s[0:1], 0x150                            // 000000003018: C0021240 00000150
	s_load_dword s74, s[0:1], 0x160                            // 000000003020: C0021280 00000160
	s_load_dword s75, s[0:1], 0x170                            // 000000003028: C00212C0 00000170
	s_load_dword s76, s[0:1], 0x180                            // 000000003030: C0021300 00000180
	s_mov_b32 s2, s2                                           // 000000003038: BE820002
	s_mov_b32 s3, s3                                           // 00000000303C: BE830003
	s_mov_b32 s4, s4                                           // 000000003040: BE840004
	s_waitcnt lgkmcnt(0)                                       // 000000003044: BF8CC07F
	s_and_b32 s51, s51, 0xffff                                 // 000000003048: 8633FF33 0000FFFF
	s_load_dword s66, s[50:51], 0x4                            // 000000003050: C0021099 00000004
	s_load_dword s50, s[50:51], 0x0                            // 000000003058: C0020C99 00000000
	s_waitcnt lgkmcnt(0)                                       // 000000003060: BF8CC07F
	s_and_b32 s45, s45, 0xffff                                 // 000000003064: 862DFF2D 0000FFFF
	s_and_b32 s47, s47, 0xffff                                 // 00000000306C: 862FFF2F 0000FFFF
	s_and_b32 s9, s9, 0xffff                                   // 000000003074: 8609FF09 0000FFFF
	s_mul_i32 s60, s66, s68                                    // 00000000307C: 923C4442
	s_mul_i32 s61, s66, 4                                      // 000000003080: 923D8442
	s_mov_b32 s22, s60                                         // 000000003084: BE96003C
	s_mov_b32 s26, -16                                         // 000000003088: BE9A00D0
	s_mov_b32 s14, -16                                         // 00000000308C: BE8E00D0
	s_mov_b32 s42, -16                                         // 000000003090: BEAA00D0
	s_mov_b32 s30, -16                                         // 000000003094: BE9E00D0
	s_mov_b32 s34, -16                                         // 000000003098: BEA200D0
	s_mov_b32 s38, -16                                         // 00000000309C: BEA600D0
	s_mov_b32 s18, -16                                         // 0000000030A0: BE9200D0
	s_mul_i32 s60, s66, s71                                    // 0000000030A4: 923C4742
	s_mov_b32 s10, s60                                         // 0000000030A8: BE8A003C
	s_mov_b32 s23, 0x20000                                     // 0000000030AC: BE9700FF 00020000
	s_mov_b32 s27, 0x20000                                     // 0000000030B4: BE9B00FF 00020000
	s_mov_b32 s15, 0x20000                                     // 0000000030BC: BE8F00FF 00020000
	s_mov_b32 s43, 0x20000                                     // 0000000030C4: BEAB00FF 00020000
	s_mov_b32 s31, 0x20000                                     // 0000000030CC: BE9F00FF 00020000
	s_mov_b32 s35, 0x20000                                     // 0000000030D4: BEA300FF 00020000
	s_mov_b32 s39, 0x20000                                     // 0000000030DC: BEA700FF 00020000
	s_mov_b32 s19, 0x20000                                     // 0000000030E4: BE9300FF 00020000
	s_mov_b32 s11, 0x20000                                     // 0000000030EC: BE8B00FF 00020000
	s_and_b32 s21, s21, 0xffff                                 // 0000000030F4: 8615FF15 0000FFFF
	s_and_b32 s25, s25, 0xffff                                 // 0000000030FC: 8619FF19 0000FFFF
	s_and_b32 s13, s13, 0xffff                                 // 000000003104: 860DFF0D 0000FFFF
	s_and_b32 s41, s41, 0xffff                                 // 00000000310C: 8629FF29 0000FFFF
	s_and_b32 s29, s29, 0xffff                                 // 000000003114: 861DFF1D 0000FFFF
	s_and_b32 s33, s33, 0xffff                                 // 00000000311C: 8621FF21 0000FFFF
	s_and_b32 s37, s37, 0xffff                                 // 000000003124: 8625FF25 0000FFFF
	s_and_b32 s17, s17, 0xffff                                 // 00000000312C: 8611FF11 0000FFFF
	s_or_b32 s21, s21, 0x40000                                 // 000000003134: 8715FF15 00040000
	s_or_b32 s25, s25, 0x40000                                 // 00000000313C: 8719FF19 00040000
	s_or_b32 s13, s13, 0x40000                                 // 000000003144: 870DFF0D 00040000
	s_or_b32 s41, s41, 0x40000                                 // 00000000314C: 8729FF29 00040000
	s_or_b32 s29, s29, 0x40000                                 // 000000003154: 871DFF1D 00040000
	s_or_b32 s33, s33, 0x40000                                 // 00000000315C: 8721FF21 00040000
	s_or_b32 s37, s37, 0x40000                                 // 000000003164: 8725FF25 00040000
	s_or_b32 s17, s17, 0x40000                                 // 00000000316C: 8711FF11 00040000
	v_accvgpr_write_b32 a63, 0                                 // 000000003174: D3D9403F 18000080
	v_mov_b32_e32 v191, 0                                      // 00000000317C: 7F7E0280
	s_waitcnt lgkmcnt(0)                                       // 000000003180: BF8CC07F
	s_mul_i32 s60, s3, 32                                      // 000000003184: 923CA003
	s_cmp_lt_i32 s60, s50                                      // 000000003188: BF04323C
	s_cbranch_scc0 label_0FE3                                  // 00000000318C: BF840EFF
	s_mov_b32 s80, 0                                           // 000000003190: BED00080
	s_mov_b32 s81, s64                                         // 000000003194: BED10040
	s_mul_i32 s60, s3, 4                                       // 000000003198: 923C8403
	s_add_u32 s46, s60, s46                                    // 00000000319C: 802E2E3C
	s_addc_u32 s47, 0, s47                                     // 0000000031A0: 822F2F80
	s_load_dword s5, s[46:47], 0x0                             // 0000000031A4: C0020157 00000000
	s_mul_i32 s60, s3, 32                                      // 0000000031AC: 923CA003
	s_mul_i32 s60, 4, s60                                      // 0000000031B0: 923C3C84
	v_and_b32_e32 v44, 15, v0                                  // 0000000031B4: 2658008F
	v_lshlrev_b32_e32 v44, 2, v44                              // 0000000031B8: 24585882
	v_add_u32_e32 v44, s60, v44                                // 0000000031BC: 6858583C
	v_mov_b32_e32 v45, 0                                       // 0000000031C0: 7E5A0280
	global_load_dword v7, v44, s[44:45]                        // 0000000031C4: DC508000 072C002C
	v_add_u32_e32 v44, 64, v44                                 // 0000000031CC: 685858C0
	global_load_dword v8, v44, s[44:45]                        // 0000000031D0: DC508000 082C002C
	s_mul_i32 s60, s3, 32                                      // 0000000031D8: 923CA003
	s_lshr_b32 s61, s7, 1                                      // 0000000031DC: 8F3D8107
	s_mul_i32 s61, s61, 8                                      // 0000000031E0: 923D883D
	s_add_u32 s60, s61, s60                                    // 0000000031E4: 803C3C3D
	s_and_b32 s61, s7, 1                                       // 0000000031E8: 863D8107
	s_mul_i32 s61, s61, 2                                      // 0000000031EC: 923D823D
	s_add_u32 s60, s61, s60                                    // 0000000031F0: 803C3C3D
	s_mul_i32 s60, 4, s60                                      // 0000000031F4: 923C3C84
	s_add_u32 s44, s60, s44                                    // 0000000031F8: 802C2C3C
	s_addc_u32 s45, 0, s45                                     // 0000000031FC: 822D2D80
	s_load_dword s82, s[44:45], 0x0                            // 000000003200: C0021496 00000000
	s_load_dword s83, s[44:45], 0x4                            // 000000003208: C00214D6 00000004
	s_load_dword s84, s[44:45], 0x10                           // 000000003210: C0021516 00000010
	s_load_dword s85, s[44:45], 0x14                           // 000000003218: C0021556 00000014
	s_load_dword s86, s[44:45], 0x40                           // 000000003220: C0021596 00000040
	s_load_dword s87, s[44:45], 0x44                           // 000000003228: C00215D6 00000044
	s_load_dword s88, s[44:45], 0x50                           // 000000003230: C0021616 00000050
	s_load_dword s89, s[44:45], 0x54                           // 000000003238: C0021656 00000054
	s_waitcnt lgkmcnt(0)                                       // 000000003240: BF8CC07F
	s_and_b32 s82, s82, 0xffffff                               // 000000003244: 8652FF52 00FFFFFF
	s_mul_i32 s62, s82, s68                                    // 00000000324C: 923E4452
	s_lshl_b32 s60, 0xff, 0                                    // 000000003250: 8E3C80FF 000000FF
	s_mov_b32 s61, 0                                           // 000000003258: BEBD0080
	s_mov_b64 exec, s[60:61]                                   // 00000000325C: BEFE013C
	v_mov_b32_e32 v32, s62                                     // 000000003260: 7E40023E
	s_and_b32 s83, s83, 0xffffff                               // 000000003264: 8653FF53 00FFFFFF
	s_mul_i32 s62, s83, s68                                    // 00000000326C: 923E4453
	s_lshl_b32 s60, 0xff, 8                                    // 000000003270: 8E3C88FF 000000FF
	s_mov_b64 exec, s[60:61]                                   // 000000003278: BEFE013C
	v_mov_b32_e32 v32, s62                                     // 00000000327C: 7E40023E
	s_and_b32 s84, s84, 0xffffff                               // 000000003280: 8654FF54 00FFFFFF
	s_mul_i32 s62, s84, s68                                    // 000000003288: 923E4454
	s_lshl_b32 s60, 0xff, 16                                   // 00000000328C: 8E3C90FF 000000FF
	s_mov_b64 exec, s[60:61]                                   // 000000003294: BEFE013C
	v_mov_b32_e32 v32, s62                                     // 000000003298: 7E40023E
	s_and_b32 s85, s85, 0xffffff                               // 00000000329C: 8655FF55 00FFFFFF
	s_mul_i32 s62, s85, s68                                    // 0000000032A4: 923E4455
	s_lshl_b32 s60, 0xff, 24                                   // 0000000032A8: 8E3C98FF 000000FF
	s_mov_b64 exec, s[60:61]                                   // 0000000032B0: BEFE013C
	v_mov_b32_e32 v32, s62                                     // 0000000032B4: 7E40023E
	s_and_b32 s86, s86, 0xffffff                               // 0000000032B8: 8656FF56 00FFFFFF
	s_mul_i32 s62, s86, s68                                    // 0000000032C0: 923E4456
	s_lshl_b32 s61, 0xff, 0                                    // 0000000032C4: 8E3D80FF 000000FF
	s_mov_b32 s60, 0                                           // 0000000032CC: BEBC0080
	s_mov_b64 exec, s[60:61]                                   // 0000000032D0: BEFE013C
	v_mov_b32_e32 v32, s62                                     // 0000000032D4: 7E40023E
	s_and_b32 s87, s87, 0xffffff                               // 0000000032D8: 8657FF57 00FFFFFF
	s_mul_i32 s62, s87, s68                                    // 0000000032E0: 923E4457
	s_lshl_b32 s61, 0xff, 8                                    // 0000000032E4: 8E3D88FF 000000FF
	s_mov_b64 exec, s[60:61]                                   // 0000000032EC: BEFE013C
	v_mov_b32_e32 v32, s62                                     // 0000000032F0: 7E40023E
	s_and_b32 s88, s88, 0xffffff                               // 0000000032F4: 8658FF58 00FFFFFF
	s_mul_i32 s62, s88, s68                                    // 0000000032FC: 923E4458
	s_lshl_b32 s61, 0xff, 16                                   // 000000003300: 8E3D90FF 000000FF
	s_mov_b64 exec, s[60:61]                                   // 000000003308: BEFE013C
	v_mov_b32_e32 v32, s62                                     // 00000000330C: 7E40023E
	s_and_b32 s89, s89, 0xffffff                               // 000000003310: 8659FF59 00FFFFFF
	s_mul_i32 s62, s89, s68                                    // 000000003318: 923E4459
	s_lshl_b32 s61, 0xff, 24                                   // 00000000331C: 8E3D98FF 000000FF
	s_mov_b64 exec, s[60:61]                                   // 000000003324: BEFE013C
	v_mov_b32_e32 v32, s62                                     // 000000003328: 7E40023E
	s_mov_b32 s60, -1                                          // 00000000332C: BEBC00C1
	s_mov_b32 s61, -1                                          // 000000003330: BEBD00C1
	s_mov_b64 exec, s[60:61]                                   // 000000003334: BEFE013C
	v_and_b32_e64 v44, v0, 7                                   // 000000003338: D113002C 00010F00
	v_lshlrev_b32_e32 v44, 4, v44                              // 000000003340: 24585884
	v_add_u32_e32 v32, v32, v44                                // 000000003344: 68405920
	s_mov_b32 s62, 0x80                                        // 000000003348: BEBE00FF 00000080
	v_add_u32_e64 v33, v32, s62                                // 000000003350: D1340021 00007D20
	v_lshlrev_b32_e32 v44, 2, v0                               // 000000003358: 24580082
	s_mul_i32 s60, s82, s71                                    // 00000000335C: 923C4752
	v_add_u32_e64 v80, v44, s60                                // 000000003360: D1340050 0000792C
	v_mov_b32_e32 v81, 0                                       // 000000003368: 7EA20280
	s_mul_i32 s60, s83, s71                                    // 00000000336C: 923C4753
	v_add_u32_e64 v82, v44, s60                                // 000000003370: D1340052 0000792C
	v_mov_b32_e32 v83, 0                                       // 000000003378: 7EA60280
	s_mul_i32 s60, s84, s71                                    // 00000000337C: 923C4754
	v_add_u32_e64 v84, v44, s60                                // 000000003380: D1340054 0000792C
	v_mov_b32_e32 v85, 0                                       // 000000003388: 7EAA0280
	s_mul_i32 s60, s85, s71                                    // 00000000338C: 923C4755
	v_add_u32_e64 v86, v44, s60                                // 000000003390: D1340056 0000792C
	v_mov_b32_e32 v87, 0                                       // 000000003398: 7EAE0280
	s_mul_i32 s60, s86, s71                                    // 00000000339C: 923C4756
	v_add_u32_e64 v88, v44, s60                                // 0000000033A0: D1340058 0000792C
	v_mov_b32_e32 v89, 0                                       // 0000000033A8: 7EB20280
	s_mul_i32 s60, s87, s71                                    // 0000000033AC: 923C4757
	v_add_u32_e64 v90, v44, s60                                // 0000000033B0: D134005A 0000792C
	v_mov_b32_e32 v91, 0                                       // 0000000033B8: 7EB60280
	s_mul_i32 s60, s88, s71                                    // 0000000033BC: 923C4758
	v_add_u32_e64 v92, v44, s60                                // 0000000033C0: D134005C 0000792C
	v_mov_b32_e32 v93, 0                                       // 0000000033C8: 7EBA0280
	s_mul_i32 s60, s89, s71                                    // 0000000033CC: 923C4759
	v_add_u32_e64 v94, v44, s60                                // 0000000033D0: D134005E 0000792C
	v_mov_b32_e32 v95, 0                                       // 0000000033D8: 7EBE0280
	s_mul_i32 s60, s7, 0x420                                   // 0000000033DC: 923CFF07 00000420
	s_add_u32 s50, 0, s60                                      // 0000000033E4: 80323C80
	s_add_u32 s51, 0x2500, s50                                 // 0000000033E8: 803332FF 00002500
	v_and_b32_e32 v44, 15, v0                                  // 0000000033F0: 2658008F
	v_lshrrev_b32_e32 v45, 3, v44                              // 0000000033F4: 205A5883
	v_mul_lo_u32 v45, 2, v45                                   // 0000000033F8: D285002D 00025A82
	v_and_b32_e32 v44, 3, v0                                   // 000000003400: 26580083
	v_lshrrev_b32_e32 v46, 1, v44                              // 000000003404: 205C5881
	v_add_u32_e32 v44, v45, v46                                // 000000003408: 68585D2D
	v_mul_i32_i24_e32 v2, 0x420, v44                           // 00000000340C: 0C0458FF 00000420
	v_and_b32_e32 v44, 7, v0                                   // 000000003414: 26580087
	v_lshrrev_b32_e32 v45, 2, v44                              // 000000003418: 205A5882
	v_mul_i32_i24_e32 v45, 0x100, v45                          // 00000000341C: 0C5A5AFF 00000100
	v_and_b32_e32 v44, 1, v0                                   // 000000003424: 26580081
	v_mul_i32_i24_e32 v46, 0x80, v44                           // 000000003428: 0C5C58FF 00000080
	v_add_u32_e32 v2, v45, v2                                  // 000000003430: 6804052D
	v_add_u32_e32 v2, v46, v2                                  // 000000003434: 6804052E
	v_lshrrev_b32_e32 v44, 4, v0                               // 000000003438: 20580084
	v_mul_lo_u32 v44, 16, v44                                  // 00000000343C: D285002C 00025890
	v_add_u32_e32 v2, v44, v2                                  // 000000003444: 6804052C
	s_mul_i32 s60, s2, 0x80                                    // 000000003448: 923CFF02 00000080
	s_mul_i32 s60, s60, s69                                    // 000000003450: 923C453C
	s_mul_i32 s61, s5, s72                                     // 000000003454: 923D4805
	s_add_u32 s60, s61, s60                                    // 000000003458: 803C3C3D
	s_add_u32 s24, s60, s24                                    // 00000000345C: 8018183C
	s_addc_u32 s25, 0, s25                                     // 000000003460: 82191980
	s_mul_i32 s60, s7, 16                                      // 000000003464: 923C9007
	s_mul_i32 s60, s60, s69                                    // 000000003468: 923C453C
	v_lshlrev_b32_e32 v34, 4, v0                               // 00000000346C: 24440084
	v_add_u32_e32 v34, s60, v34                                // 000000003470: 6844443C
	s_mul_i32 s60, 64, s69                                     // 000000003474: 923C45C0
	v_add_u32_e32 v35, s60, v34                                // 000000003478: 6846443C
	s_mov_b32 s92, s24                                         // 00000000347C: BEDC0018
	s_mov_b32 s93, s25                                         // 000000003480: BEDD0019
	s_mov_b32 s94, s26                                         // 000000003484: BEDE001A
	s_mov_b32 s95, s27                                         // 000000003488: BEDF001B
	s_mul_i32 s60, s69, s65                                    // 00000000348C: 923C4145
	s_add_u32 s92, s60, s92                                    // 000000003490: 805C5C3C
	s_addc_u32 s93, 0, s93                                     // 000000003494: 825D5D80
	s_mul_i32 s60, s2, 0x800                                   // 000000003498: 923CFF02 00000800
	s_mul_i32 s61, s5, s73                                     // 0000000034A0: 923D4905
	s_add_u32 s60, s61, s60                                    // 0000000034A4: 803C3C3D
	s_add_u32 s12, s60, s12                                    // 0000000034A8: 800C0C3C
	s_addc_u32 s13, 0, s13                                     // 0000000034AC: 820D0D80
	s_mul_i32 s60, s7, 16                                      // 0000000034B0: 923C9007
	s_mul_i32 s60, s60, s70                                    // 0000000034B4: 923C463C
	v_lshlrev_b32_e32 v36, 4, v0                               // 0000000034B8: 24480084
	v_add_u32_e32 v36, s60, v36                                // 0000000034BC: 6848483C
	s_mul_i32 s60, 64, s70                                     // 0000000034C0: 923C46C0
	v_add_u32_e32 v37, s60, v36                                // 0000000034C4: 684A483C
	v_add_u32_e32 v38, s60, v37                                // 0000000034C8: 684C4A3C
	v_add_u32_e32 v39, s60, v38                                // 0000000034CC: 684E4C3C
	s_mul_i32 s60, s70, 0x100                                  // 0000000034D0: 923CFF46 00000100
	s_mov_b32 s78, 0x800                                       // 0000000034D8: BECE00FF 00000800
	s_mul_i32 s61, s78, 0                                      // 0000000034E0: 923D804E
	s_sub_u32 s56, s60, s61                                    // 0000000034E4: 80B83D3C
	s_mul_i32 s60, s3, 32                                      // 0000000034E8: 923CA003
	s_mul_i32 s60, 4, s60                                      // 0000000034EC: 923C3C84
	s_add_u32 s40, s60, s40                                    // 0000000034F0: 8028283C
	s_addc_u32 s41, 0, s41                                     // 0000000034F4: 82292980
	v_and_b32_e32 v44, 15, v0                                  // 0000000034F8: 2658008F
	v_lshlrev_b32_e32 v9, 2, v44                               // 0000000034FC: 24125882
	v_add_u32_e32 v10, 64, v9                                  // 000000003500: 681412C0
	s_lshr_b32 s60, s64, 7                                     // 000000003504: 8F3C8740
	s_mul_i32 s61, s60, 4                                      // 000000003508: 923D843C
	v_and_b32_e64 v11, v0, 0                                   // 00000000350C: D113000B 00010100
	v_mul_lo_u32 v11, v11, s61                                 // 000000003514: D285000B 00007B0B
	v_and_b32_e64 v44, v0, 3                                   // 00000000351C: D113002C 00010700
	v_lshrrev_b32_e32 v44, 1, v44                              // 000000003524: 20585881
	v_mul_lo_u32 v44, 4, v44                                   // 000000003528: D285002C 00025884
	v_add_u32_e32 v11, v11, v44                                // 000000003530: 6816590B
	s_lshr_b32 s60, s65, 7                                     // 000000003534: 8F3C8741
	s_mul_i32 s60, s60, s61                                    // 000000003538: 923C3D3C
	v_add_u32_e64 v13, v11, s60                                // 00000000353C: D134000D 0000790B
	s_mov_b32 s4, 8                                            // 000000003544: BE840088
	s_mul_i32 s60, s2, 1                                       // 000000003548: 923C8102
	s_mul_i32 s60, s60, s61                                    // 00000000354C: 923C3D3C
	s_mul_i32 s61, s5, s74                                     // 000000003550: 923D4A05
	s_add_u32 s61, s61, s60                                    // 000000003554: 803D3C3D
	s_add_u32 s32, s61, s32                                    // 000000003558: 8020203D
	s_addc_u32 s33, 0, s33                                     // 00000000355C: 82212180
	s_lshr_b32 s60, s65, 7                                     // 000000003560: 8F3C8741
	s_mul_i32 s61, s60, 4                                      // 000000003564: 923D843C
	s_mul_i32 s60, s2, 1                                       // 000000003568: 923C8102
	s_mul_i32 s60, s60, 4                                      // 00000000356C: 923C843C
	v_and_b32_e64 v6, v0, 1                                    // 000000003570: D1130006 00010300
	v_mul_lo_u32 v6, v6, s61                                   // 000000003578: D2850006 00007B06
	v_and_b32_e64 v44, v0, 1                                   // 000000003580: D113002C 00010300
	v_lshrrev_b32_e32 v44, 1, v44                              // 000000003588: 20585881
	v_mul_lo_u32 v44, 4, v44                                   // 00000000358C: D285002C 00025884
	v_add_i32 v6, v6, v44                                      // 000000003594: D29C0006 00025906
	v_add_i32 v6, v6, s60                                      // 00000000359C: D29C0006 00007906
	s_mul_i32 s60, s5, s75                                     // 0000000035A4: 923C4B05
	s_add_u32 s16, s60, s16                                    // 0000000035A8: 8010103C
	s_addc_u32 s17, 0, s17                                     // 0000000035AC: 82111180
	s_mov_b32 s57, 0x100                                       // 0000000035B0: BEB900FF 00000100
	s_mov_b32 s58, 0x1000                                      // 0000000035B8: BEBA00FF 00001000
	s_mul_i32 s79, 2, s61                                      // 0000000035C0: 924F3D82
	s_mov_b32 s59, 0                                           // 0000000035C4: BEBB0080
	s_mov_b32 s90, s58                                         // 0000000035C8: BEDA003A
	s_mov_b32 s52, 0x7060302                                   // 0000000035CC: BEB400FF 07060302
	s_mov_b32 s53, 0x400                                       // 0000000035D4: BEB500FF 00000400
	s_mov_b32 s54, 0x40100                                     // 0000000035DC: BEB600FF 00040100
	s_mov_b32 s55, 0x4020100                                   // 0000000035E4: BEB700FF 04020100
	s_mov_b32 s6, 0x3fb8aa3b                                   // 0000000035EC: BE8600FF 3FB8AA3B
	s_mov_b32 s77, 0xbd92220c                                  // 0000000035F4: BECD00FF BD92220C
	s_mov_b32 m0, s50                                          // 0000000035FC: BEFC0032
	v_mov_b32_e32 v1, 0xbfcc4231                               // 000000003600: 7E0202FF BFCC4231
	v_mov_b32_e32 v41, 0xffff0000                              // 000000003608: 7E5202FF FFFF0000
	v_mov_b32_e32 v42, 0x7fff0000                              // 000000003610: 7E5402FF 7FFF0000
	v_mov_b32_e32 v43, 0x7fff                                  // 000000003618: 7E5602FF 00007FFF
	s_waitcnt vmcnt(0) expcnt(0) lgkmcnt(0)                    // 000000003620: BF8C0000
	v_and_b32_e32 v7, 0xffffff, v7                             // 000000003624: 260E0EFF 00FFFFFF
	v_and_b32_e32 v8, 0xffffff, v8                             // 00000000362C: 261010FF 00FFFFFF
	v_lshlrev_b32_e32 v7, 2, v7                                // 000000003634: 240E0E82
	v_lshlrev_b32_e32 v8, 2, v8                                // 000000003638: 24101082
	s_lshr_b32 s60, s7, 1                                      // 00000000363C: 8F3C8107
	s_lshl_b32 s3, s66, 2                                      // 000000003640: 8E038242
	s_mul_i32 s60, s60, s3                                     // 000000003644: 923C033C
	s_add_u32 s28, s28, s60                                    // 000000003648: 801C3C1C
	s_addc_u32 s29, 0, s29                                     // 00000000364C: 821D1D80
	s_mov_b32 s30, s3                                          // 000000003650: BE9E0003
	s_lshl_b32 s3, s3, 1                                       // 000000003654: 8E038103
	s_and_b32 s61, s7, 1                                       // 000000003658: 863D8107
	s_cmp_eq_u32 s61, 1                                        // 00000000365C: BF06813D
	s_cselect_b32 s60, 0, 1                                    // 000000003660: 853C8180
	v_mul_lo_u32 v44, v7, s60                                  // 000000003664: D285002C 00007907
	v_mul_lo_u32 v45, v8, s61                                  // 00000000366C: D285002D 00007B08
	v_add_u32_e32 v44, v44, v45                                // 000000003674: 68585B2C
	v_mov_b32_e32 v7, v44                                      // 000000003678: 7E0E032C
	s_mul_i32 s60, s7, 0x100                                   // 00000000367C: 923CFF07 00000100
	s_sub_u32 s61, 4, s7                                       // 000000003684: 80BD0784
	s_mul_i32 s61, s61, 0x420                                  // 000000003688: 923DFF3D 00000420
	s_add_u32 s76, s60, s61                                    // 000000003690: 804C3D3C
	v_lshlrev_b32_e32 v3, 2, v0                                // 000000003694: 24060082
	buffer_load_dword v23, v11, s[32:35], 0 offen              // 000000003698: E0501000 8008170B
	buffer_load_dword v25, v9, s[40:43], 0 offen               // 0000000036A0: E0501000 800A1909
	buffer_load_dword v26, v10, s[40:43], 0 offen              // 0000000036A8: E0501000 800A1A0A
	buffer_load_dwordx4 v32, s[20:23], 0 offen lds             // 0000000036B0: E05D1000 80050020
	s_add_u32 m0, 0x1080, s50                                  // 0000000036B8: 807C32FF 00001080
	buffer_load_dwordx4 v33, s[20:23], 0 offen lds             // 0000000036C0: E05D1000 80050021
	s_add_u32 m0, m0, s76                                      // 0000000036C8: 807C4C7C
	buffer_load_dword v7, s[28:31], 0 offen lds                // 0000000036CC: E0511000 80070007
	s_add_u32 m0, 0, s51                                       // 0000000036D4: 807C3380
	s_add_u32 s20, s57, s20                                    // 0000000036D8: 80141439
	s_addc_u32 s21, 0, s21                                     // 0000000036DC: 82151580
	s_add_u32 s28, s3, s28                                     // 0000000036E0: 801C1C03
	s_addc_u32 s29, 0, s29                                     // 0000000036E4: 821D1D80
	buffer_load_dwordx4 a[0:3], v34, s[24:27], 0 offen         // 0000000036E8: E05C1000 80860022
	buffer_load_dwordx4 a[4:7], v34, s[24:27], 0 offen offset:1024// 0000000036F0: E05C1400 80860422
	buffer_load_dwordx4 a[8:11], v35, s[24:27], 0 offen        // 0000000036F8: E05C1000 80860823
	buffer_load_dwordx4 a[12:15], v35, s[24:27], 0 offen offset:1024// 000000003700: E05C1400 80860C23
	buffer_load_dwordx4 a[16:19], v34, s[24:27], 0 offen offset:2048// 000000003708: E05C1800 80861022
	buffer_load_dwordx4 a[20:23], v34, s[24:27], 0 offen offset:3072// 000000003710: E05C1C00 80861422
	buffer_load_dwordx4 a[24:27], v35, s[24:27], 0 offen offset:2048// 000000003718: E05C1800 80861823
	buffer_load_dwordx4 a[28:31], v35, s[24:27], 0 offen offset:3072// 000000003720: E05C1C00 80861C23
	s_add_u32 s24, s58, s24                                    // 000000003728: 8018183A
	s_addc_u32 s25, 0, s25                                     // 00000000372C: 82191980
	v_mov_b32_e32 v96, 0                                       // 000000003730: 7EC00280
	v_mov_b32_e32 v64, 0                                       // 000000003734: 7E800280
	v_mov_b32_e32 v97, 0                                       // 000000003738: 7EC20280
	v_mov_b32_e32 v65, 0                                       // 00000000373C: 7E820280
	v_mov_b32_e32 v98, 0                                       // 000000003740: 7EC40280
	v_mov_b32_e32 v66, 0                                       // 000000003744: 7E840280
	v_mov_b32_e32 v99, 0                                       // 000000003748: 7EC60280
	v_mov_b32_e32 v67, 0                                       // 00000000374C: 7E860280
	v_mov_b32_e32 v100, 0                                      // 000000003750: 7EC80280
	v_mov_b32_e32 v68, 0                                       // 000000003754: 7E880280
	v_mov_b32_e32 v101, 0                                      // 000000003758: 7ECA0280
	v_mov_b32_e32 v69, 0                                       // 00000000375C: 7E8A0280
	v_mov_b32_e32 v102, 0                                      // 000000003760: 7ECC0280
	v_mov_b32_e32 v70, 0                                       // 000000003764: 7E8C0280
	v_mov_b32_e32 v103, 0                                      // 000000003768: 7ECE0280
	v_mov_b32_e32 v71, 0                                       // 00000000376C: 7E8E0280
	v_mov_b32_e32 v104, 0                                      // 000000003770: 7ED00280
	v_mov_b32_e32 v72, 0                                       // 000000003774: 7E900280
	v_mov_b32_e32 v105, 0                                      // 000000003778: 7ED20280
	v_mov_b32_e32 v73, 0                                       // 00000000377C: 7E920280
	v_mov_b32_e32 v106, 0                                      // 000000003780: 7ED40280
	v_mov_b32_e32 v74, 0                                       // 000000003784: 7E940280
	v_mov_b32_e32 v107, 0                                      // 000000003788: 7ED60280
	v_mov_b32_e32 v75, 0                                       // 00000000378C: 7E960280
	v_mov_b32_e32 v108, 0                                      // 000000003790: 7ED80280
	v_mov_b32_e32 v76, 0                                       // 000000003794: 7E980280
	v_mov_b32_e32 v109, 0                                      // 000000003798: 7EDA0280
	v_mov_b32_e32 v77, 0                                       // 00000000379C: 7E9A0280
	v_mov_b32_e32 v110, 0                                      // 0000000037A0: 7EDC0280
	v_mov_b32_e32 v78, 0                                       // 0000000037A4: 7E9C0280
	v_mov_b32_e32 v111, 0                                      // 0000000037A8: 7EDE0280
	v_mov_b32_e32 v79, 0                                       // 0000000037AC: 7E9E0280
	v_mov_b32_e32 v112, 0                                      // 0000000037B0: 7EE00280
	v_mov_b32_e32 v80, 0                                       // 0000000037B4: 7EA00280
	v_mov_b32_e32 v113, 0                                      // 0000000037B8: 7EE20280
	v_mov_b32_e32 v81, 0                                       // 0000000037BC: 7EA20280
	v_mov_b32_e32 v114, 0                                      // 0000000037C0: 7EE40280
	v_mov_b32_e32 v82, 0                                       // 0000000037C4: 7EA40280
	v_mov_b32_e32 v115, 0                                      // 0000000037C8: 7EE60280
	v_mov_b32_e32 v83, 0                                       // 0000000037CC: 7EA60280
	v_mov_b32_e32 v116, 0                                      // 0000000037D0: 7EE80280
	v_mov_b32_e32 v84, 0                                       // 0000000037D4: 7EA80280
	v_mov_b32_e32 v117, 0                                      // 0000000037D8: 7EEA0280
	v_mov_b32_e32 v85, 0                                       // 0000000037DC: 7EAA0280
	v_mov_b32_e32 v118, 0                                      // 0000000037E0: 7EEC0280
	v_mov_b32_e32 v86, 0                                       // 0000000037E4: 7EAC0280
	v_mov_b32_e32 v119, 0                                      // 0000000037E8: 7EEE0280
	v_mov_b32_e32 v87, 0                                       // 0000000037EC: 7EAE0280
	v_mov_b32_e32 v120, 0                                      // 0000000037F0: 7EF00280
	v_mov_b32_e32 v88, 0                                       // 0000000037F4: 7EB00280
	v_mov_b32_e32 v121, 0                                      // 0000000037F8: 7EF20280
	v_mov_b32_e32 v89, 0                                       // 0000000037FC: 7EB20280
	v_mov_b32_e32 v122, 0                                      // 000000003800: 7EF40280
	v_mov_b32_e32 v90, 0                                       // 000000003804: 7EB40280
	v_mov_b32_e32 v123, 0                                      // 000000003808: 7EF60280
	v_mov_b32_e32 v91, 0                                       // 00000000380C: 7EB60280
	v_mov_b32_e32 v124, 0                                      // 000000003810: 7EF80280
	v_mov_b32_e32 v92, 0                                       // 000000003814: 7EB80280
	v_mov_b32_e32 v125, 0                                      // 000000003818: 7EFA0280
	v_mov_b32_e32 v93, 0                                       // 00000000381C: 7EBA0280
	v_mov_b32_e32 v126, 0                                      // 000000003820: 7EFC0280
	v_mov_b32_e32 v94, 0                                       // 000000003824: 7EBC0280
	v_mov_b32_e32 v127, 0                                      // 000000003828: 7EFE0280
	v_mov_b32_e32 v95, 0                                       // 00000000382C: 7EBE0280
	v_lshrrev_b32_e32 v44, 4, v0                               // 000000003830: 20580084
	v_mul_lo_u32 v4, 34, v44                                   // 000000003834: D2850004 000258A2
	v_and_b32_e32 v44, 15, v0                                  // 00000000383C: 2658008F
	v_mul_lo_u32 v45, 2, v44                                   // 000000003840: D285002D 00025882
	v_add_u32_e32 v4, v45, v4                                  // 000000003848: 6808092D
	s_mul_i32 s60, s7, 0x88                                    // 00000000384C: 923CFF07 00000088
	v_add_u32_e32 v4, s60, v4                                  // 000000003854: 6808083C
	v_lshlrev_b32_e32 v4, 2, v4                                // 000000003858: 24080882
	v_lshrrev_b32_e32 v44, 1, v0                               // 00000000385C: 20580081
	v_mul_lo_u32 v5, 34, v44                                   // 000000003860: D2850005 000258A2
	v_and_b32_e32 v45, 1, v0                                   // 000000003868: 265A0081
	v_add_u32_e32 v5, v45, v5                                  // 00000000386C: 680A0B2D
	s_mov_b32 s60, 0                                           // 000000003870: BEBC0080
	s_lshr_b32 s61, s7, 1                                      // 000000003874: 8F3D8107
	s_mul_i32 s61, s61, 8                                      // 000000003878: 923D883D
	s_add_u32 s60, s61, s60                                    // 00000000387C: 803C3C3D
	s_and_b32 s61, s7, 1                                       // 000000003880: 863D8107
	s_mul_i32 s61, s61, 2                                      // 000000003884: 923D823D
	s_add_u32 s60, s61, s60                                    // 000000003888: 803C3C3D
	s_mul_i32 s60, 2, s60                                      // 00000000388C: 923C3C82
	v_add_u32_e32 v5, s60, v5                                  // 000000003890: 680A0A3C
	v_lshlrev_b32_e32 v5, 2, v5                                // 000000003894: 240A0A82
	s_waitcnt vmcnt(8)                                         // 000000003898: BF8C0F78
	s_barrier                                                  // 00000000389C: BF8A0000
	ds_read_b128 v[128:131], v2                                // 0000000038A0: D9FE0000 80000002
	ds_read_b128 v[132:135], v2 offset:64                      // 0000000038A8: D9FE0040 84000002
	ds_read_b128 v[136:139], v2 offset:4224                    // 0000000038B0: D9FE1080 88000002
	ds_read_b128 v[140:143], v2 offset:4288                    // 0000000038B8: D9FE10C0 8C000002
	ds_read_b128 v[144:147], v2 offset:512                     // 0000000038C0: D9FE0200 90000002
	ds_read_b128 v[148:151], v2 offset:576                     // 0000000038C8: D9FE0240 94000002
	ds_read_b128 v[152:155], v2 offset:4736                    // 0000000038D0: D9FE1280 98000002
	ds_read_b128 v[156:159], v2 offset:4800                    // 0000000038D8: D9FE12C0 9C000002
	ds_read_b32 v15, v3 offset:8448                            // 0000000038E0: D86C2100 0F000003
	ds_read_b32 v16, v3 offset:8704                            // 0000000038E8: D86C2200 10000003
	ds_read_b32 v17, v3 offset:8960                            // 0000000038F0: D86C2300 11000003
	ds_read_b32 v18, v3 offset:9216                            // 0000000038F8: D86C2400 12000003
	s_cmp_lt_i32 s7, 2                                         // 000000003900: BF048207
	s_cbranch_scc0 label_08A9                                  // 000000003904: BF8405E7

0000000000003908 <label_02C2>:
	s_waitcnt vmcnt(4) lgkmcnt(0)                              // 000000003908: BF8C0074
	s_barrier                                                  // 00000000390C: BF8A0000
	v_mfma_f32_16x16x128_f8f6f4 v[112:115], a[0:7], v[128:135], 0// 000000003910: D3AD0070 0A030100
	v_mfma_f32_16x16x128_f8f6f4 v[116:119], a[0:7], v[144:151], 0// 000000003918: D3AD0074 0A032100
	buffer_load_dwordx4 v32, s[20:23], 0 offen lds             // 000000003920: E05D1000 80050020
	s_add_u32 m0, 0x1080, s51                                  // 000000003928: 807C33FF 00001080
	buffer_load_dwordx4 v33, s[20:23], 0 offen lds             // 000000003930: E05D1000 80050021
	s_add_u32 m0, m0, s76                                      // 000000003938: 807C4C7C
	buffer_load_dwordx4 a[32:35], v34, s[92:95], 0 offen       // 00000000393C: E05C1000 80972022
	buffer_load_dwordx4 a[36:39], v34, s[92:95], 0 offen offset:1024// 000000003944: E05C1400 80972422
	v_mfma_f32_16x16x128_f8f6f4 v[120:123], a[8:15], v[128:135], 0// 00000000394C: D3AD0078 0A030108
	v_mfma_f32_16x16x128_f8f6f4 v[124:127], a[8:15], v[144:151], 0// 000000003954: D3AD007C 0A032108
	buffer_load_dwordx4 a[40:43], v35, s[92:95], 0 offen       // 00000000395C: E05C1000 80972823
	buffer_load_dwordx4 a[44:47], v35, s[92:95], 0 offen offset:1024// 000000003964: E05C1400 80972C23
	buffer_load_dword v7, s[28:31], 0 offen lds                // 00000000396C: E0511000 80070007
	s_add_u32 m0, 0, s50                                       // 000000003974: 807C3280
	buffer_load_dword v24, v13, s[32:35], 0 offen              // 000000003978: E0501000 8008180D
	v_mul_f32_dpp v44, v23, v15 row_newbcast:0 row_mask:0xf bank_mask:0xf// 000000003980: 0A581EFA FF015017
	v_mov_b32_e32 v45, v44                                     // 000000003988: 7E5A032C
	v_pk_fma_f32 v[96:97], v[112:113], v[44:45], v[96:97]      // 00000000398C: D3B04060 1D825970
	v_pk_fma_f32 v[98:99], v[114:115], v[44:45], v[98:99]      // 000000003994: D3B04062 1D8A5972
	v_pk_fma_f32 v[104:105], v[120:121], v[44:45], v[104:105]  // 00000000399C: D3B04068 1DA25978
	v_pk_fma_f32 v[106:107], v[122:123], v[44:45], v[106:107]  // 0000000039A4: D3B0406A 1DAA597A
	v_mul_f32_dpp v44, v23, v16 row_newbcast:0 row_mask:0xf bank_mask:0xf// 0000000039AC: 0A5820FA FF015017
	v_mov_b32_e32 v45, v44                                     // 0000000039B4: 7E5A032C
	v_pk_fma_f32 v[100:101], v[116:117], v[44:45], v[100:101]  // 0000000039B8: D3B04064 1D925974
	v_pk_fma_f32 v[102:103], v[118:119], v[44:45], v[102:103]  // 0000000039C0: D3B04066 1D9A5976
	v_pk_fma_f32 v[108:109], v[124:125], v[44:45], v[108:109]  // 0000000039C8: D3B0406C 1DB2597C
	v_pk_fma_f32 v[110:111], v[126:127], v[44:45], v[110:111]  // 0000000039D0: D3B0406E 1DBA597E
	s_waitcnt vmcnt(8)                                         // 0000000039D8: BF8C0F78
	v_mfma_f32_16x16x128_f8f6f4 v[112:115], a[16:23], v[136:143], 0// 0000000039DC: D3AD0070 0A031110
	v_mfma_f32_16x16x128_f8f6f4 v[116:119], a[16:23], v[152:159], 0// 0000000039E4: D3AD0074 0A033110
	buffer_load_dwordx4 a[48:51], v34, s[92:95], 0 offen offset:2048// 0000000039EC: E05C1800 80973022
	buffer_load_dwordx4 a[52:55], v34, s[92:95], 0 offen offset:3072// 0000000039F4: E05C1C00 80973422
	v_mfma_f32_16x16x128_f8f6f4 v[120:123], a[24:31], v[136:143], 0// 0000000039FC: D3AD0078 0A031118
	v_mfma_f32_16x16x128_f8f6f4 v[124:127], a[24:31], v[152:159], 0// 000000003A04: D3AD007C 0A033118
	buffer_load_dwordx4 a[56:59], v35, s[92:95], 0 offen offset:2048// 000000003A0C: E05C1800 80973823
	buffer_load_dwordx4 a[60:63], v35, s[92:95], 0 offen offset:3072// 000000003A14: E05C1C00 80973C23
	v_mul_f32_dpp v44, v23, v17 row_newbcast:2 row_mask:0xf bank_mask:0xf// 000000003A1C: 0A5822FA FF015217
	v_mov_b32_e32 v45, v44                                     // 000000003A24: 7E5A032C
	v_pk_fma_f32 v[96:97], v[112:113], v[44:45], v[96:97]      // 000000003A28: D3B04060 1D825970
	v_pk_fma_f32 v[98:99], v[114:115], v[44:45], v[98:99]      // 000000003A30: D3B04062 1D8A5972
	v_pk_fma_f32 v[104:105], v[120:121], v[44:45], v[104:105]  // 000000003A38: D3B04068 1DA25978
	v_pk_fma_f32 v[106:107], v[122:123], v[44:45], v[106:107]  // 000000003A40: D3B0406A 1DAA597A
	v_mul_f32_dpp v44, v23, v18 row_newbcast:2 row_mask:0xf bank_mask:0xf// 000000003A48: 0A5824FA FF015217
	v_mov_b32_e32 v45, v44                                     // 000000003A50: 7E5A032C
	v_pk_fma_f32 v[100:101], v[116:117], v[44:45], v[100:101]  // 000000003A54: D3B04064 1D925974
	v_pk_fma_f32 v[102:103], v[118:119], v[44:45], v[102:103]  // 000000003A5C: D3B04066 1D9A5976
	v_pk_fma_f32 v[108:109], v[124:125], v[44:45], v[108:109]  // 000000003A64: D3B0406C 1DB2597C
	v_pk_fma_f32 v[110:111], v[126:127], v[44:45], v[110:111]  // 000000003A6C: D3B0406E 1DBA597E
	s_add_u32 s60, 0x100, s80                                  // 000000003A74: 803C50FF 00000100
	s_cmp_lt_u32 s60, s81                                      // 000000003A7C: BF0A513C
	s_cselect_b32 s4, s4, 0                                    // 000000003A80: 85048004
	s_add_u32 s32, s4, s32                                     // 000000003A84: 80202004
	s_addc_u32 s33, 0, s33                                     // 000000003A88: 82212180
	s_waitcnt vmcnt(4)                                         // 000000003A8C: BF8C0F74
	s_barrier                                                  // 000000003A90: BF8A0000
	v_mfma_f32_16x16x128_f8f6f4 v[112:115], a[32:39], v[128:135], 0// 000000003A94: D3AD0070 0A030120
	v_mfma_f32_16x16x128_f8f6f4 v[116:119], a[32:39], v[144:151], 0// 000000003A9C: D3AD0074 0A032120
	buffer_load_dwordx4 a[0:3], v34, s[24:27], 0 offen         // 000000003AA4: E05C1000 80860022
	buffer_load_dwordx4 a[4:7], v34, s[24:27], 0 offen offset:1024// 000000003AAC: E05C1400 80860422
	buffer_load_dword v23, v11, s[32:35], 0 offen              // 000000003AB4: E0501000 8008170B
	v_mfma_f32_16x16x128_f8f6f4 v[120:123], a[40:47], v[128:135], 0// 000000003ABC: D3AD0078 0A030128
	v_mfma_f32_16x16x128_f8f6f4 v[124:127], a[40:47], v[144:151], 0// 000000003AC4: D3AD007C 0A032128
	buffer_load_dwordx4 a[8:11], v35, s[24:27], 0 offen        // 000000003ACC: E05C1000 80860823
	buffer_load_dwordx4 a[12:15], v35, s[24:27], 0 offen offset:1024// 000000003AD4: E05C1400 80860C23
	v_mul_f32_dpp v44, v24, v15 row_newbcast:0 row_mask:0xf bank_mask:0xf// 000000003ADC: 0A581EFA FF015018
	v_mov_b32_e32 v45, v44                                     // 000000003AE4: 7E5A032C
	v_pk_fma_f32 v[64:65], v[112:113], v[44:45], v[64:65]      // 000000003AE8: D3B04040 1D025970
	v_pk_fma_f32 v[66:67], v[114:115], v[44:45], v[66:67]      // 000000003AF0: D3B04042 1D0A5972
	v_pk_fma_f32 v[72:73], v[120:121], v[44:45], v[72:73]      // 000000003AF8: D3B04048 1D225978
	v_pk_fma_f32 v[74:75], v[122:123], v[44:45], v[74:75]      // 000000003B00: D3B0404A 1D2A597A
	v_mul_f32_dpp v44, v24, v16 row_newbcast:0 row_mask:0xf bank_mask:0xf// 000000003B08: 0A5820FA FF015018
	v_mov_b32_e32 v45, v44                                     // 000000003B10: 7E5A032C
	v_pk_fma_f32 v[68:69], v[116:117], v[44:45], v[68:69]      // 000000003B14: D3B04044 1D125974
	v_pk_fma_f32 v[70:71], v[118:119], v[44:45], v[70:71]      // 000000003B1C: D3B04046 1D1A5976
	v_pk_fma_f32 v[76:77], v[124:125], v[44:45], v[76:77]      // 000000003B24: D3B0404C 1D32597C
	v_pk_fma_f32 v[78:79], v[126:127], v[44:45], v[78:79]      // 000000003B2C: D3B0404E 1D3A597E
	s_waitcnt vmcnt(5)                                         // 000000003B34: BF8C0F75
	v_mfma_f32_16x16x128_f8f6f4 v[112:115], a[48:55], v[136:143], 0// 000000003B38: D3AD0070 0A031130
	s_waitcnt lgkmcnt(0)                                       // 000000003B40: BF8CC07F
	s_barrier                                                  // 000000003B44: BF8A0000
	ds_read_b128 v[160:163], v2 offset:9472                    // 000000003B48: D9FE2500 A0000002
	ds_read_b128 v[164:167], v2 offset:9536                    // 000000003B50: D9FE2540 A4000002
	ds_read_b128 v[168:171], v2 offset:13696                   // 000000003B58: D9FE3580 A8000002
	ds_read_b128 v[172:175], v2 offset:13760                   // 000000003B60: D9FE35C0 AC000002
	ds_read_b32 v19, v3 offset:17920                           // 000000003B68: D86C4600 13000003
	ds_read_b32 v20, v3 offset:18176                           // 000000003B70: D86C4700 14000003
	v_mfma_f32_16x16x128_f8f6f4 v[116:119], a[48:55], v[152:159], 0// 000000003B78: D3AD0074 0A033130
	buffer_load_dwordx4 a[16:19], v34, s[24:27], 0 offen offset:2048// 000000003B80: E05C1800 80861022
	buffer_load_dwordx4 a[20:23], v34, s[24:27], 0 offen offset:3072// 000000003B88: E05C1C00 80861422
	v_mfma_f32_16x16x128_f8f6f4 v[120:123], a[56:63], v[136:143], 0// 000000003B90: D3AD0078 0A031138
	ds_read_b128 v[176:179], v2 offset:9984                    // 000000003B98: D9FE2700 B0000002
	ds_read_b128 v[180:183], v2 offset:10048                   // 000000003BA0: D9FE2740 B4000002
	ds_read_b128 v[184:187], v2 offset:14208                   // 000000003BA8: D9FE3780 B8000002
	ds_read_b128 v[188:191], v2 offset:14272                   // 000000003BB0: D9FE37C0 BC000002
	ds_read_b32 v21, v3 offset:18432                           // 000000003BB8: D86C4800 15000003
	ds_read_b32 v22, v3 offset:18688                           // 000000003BC0: D86C4900 16000003
	v_mfma_f32_16x16x128_f8f6f4 v[124:127], a[56:63], v[152:159], 0// 000000003BC8: D3AD007C 0A033138
	buffer_load_dwordx4 a[24:27], v35, s[24:27], 0 offen offset:2048// 000000003BD0: E05C1800 80861823
	buffer_load_dwordx4 a[28:31], v35, s[24:27], 0 offen offset:3072// 000000003BD8: E05C1C00 80861C23
	v_mul_f32_dpp v44, v24, v17 row_newbcast:2 row_mask:0xf bank_mask:0xf// 000000003BE0: 0A5822FA FF015218
	v_mov_b32_e32 v45, v44                                     // 000000003BE8: 7E5A032C
	v_pk_fma_f32 v[64:65], v[112:113], v[44:45], v[64:65]      // 000000003BEC: D3B04040 1D025970
	v_pk_fma_f32 v[66:67], v[114:115], v[44:45], v[66:67]      // 000000003BF4: D3B04042 1D0A5972
	v_pk_fma_f32 v[72:73], v[120:121], v[44:45], v[72:73]      // 000000003BFC: D3B04048 1D225978
	v_pk_fma_f32 v[74:75], v[122:123], v[44:45], v[74:75]      // 000000003C04: D3B0404A 1D2A597A
	v_mul_f32_dpp v44, v24, v18 row_newbcast:2 row_mask:0xf bank_mask:0xf// 000000003C0C: 0A5824FA FF015218
	v_mov_b32_e32 v45, v44                                     // 000000003C14: 7E5A032C
	v_pk_fma_f32 v[68:69], v[116:117], v[44:45], v[68:69]      // 000000003C18: D3B04044 1D125974
	v_pk_fma_f32 v[70:71], v[118:119], v[44:45], v[70:71]      // 000000003C20: D3B04046 1D1A5976
	v_pk_fma_f32 v[76:77], v[124:125], v[44:45], v[76:77]      // 000000003C28: D3B0404C 1D32597C
	v_pk_fma_f32 v[78:79], v[126:127], v[44:45], v[78:79]      // 000000003C30: D3B0404E 1D3A597E
	s_add_u32 s60, 0x200, s80                                  // 000000003C38: 803C50FF 00000200
	s_cmp_lt_u32 s60, s81                                      // 000000003C40: BF0A513C
	s_cselect_b32 s57, s57, 0                                  // 000000003C44: 85398039
	s_cselect_b32 s3, s3, 0                                    // 000000003C48: 85038003
	s_add_u32 s60, 0x200, s80                                  // 000000003C4C: 803C50FF 00000200
	s_cmp_lt_u32 s60, s81                                      // 000000003C54: BF0A513C
	s_cselect_b32 s58, s58, 0                                  // 000000003C58: 853A803A
	s_add_u32 s20, s57, s20                                    // 000000003C5C: 80141439
	s_addc_u32 s21, 0, s21                                     // 000000003C60: 82151580
	s_add_u32 s28, s3, s28                                     // 000000003C64: 801C1C03
	s_addc_u32 s29, 0, s29                                     // 000000003C68: 821D1D80
	s_add_u32 s24, s58, s24                                    // 000000003C6C: 8018183A
	s_addc_u32 s25, 0, s25                                     // 000000003C70: 82191980
	s_add_u32 s92, s90, s92                                    // 000000003C74: 805C5C5A
	s_addc_u32 s93, 0, s93                                     // 000000003C78: 825D5D80
	s_addk_i32 s80, 0x100                                      // 000000003C7C: B7500100
	s_cmp_lt_i32 s80, s81                                      // 000000003C80: BF045150
	s_cbranch_scc0 label_0483                                  // 000000003C84: BF8400E1
	s_waitcnt vmcnt(4) lgkmcnt(0)                              // 000000003C88: BF8C0074
	s_barrier                                                  // 000000003C8C: BF8A0000
	v_mfma_f32_16x16x128_f8f6f4 v[112:115], a[0:7], v[160:167], 0// 000000003C90: D3AD0070 0A034100
	v_mfma_f32_16x16x128_f8f6f4 v[116:119], a[0:7], v[176:183], 0// 000000003C98: D3AD0074 0A036100
	buffer_load_dwordx4 v32, s[20:23], 0 offen lds             // 000000003CA0: E05D1000 80050020
	s_add_u32 m0, 0x1080, s50                                  // 000000003CA8: 807C32FF 00001080
	buffer_load_dwordx4 v33, s[20:23], 0 offen lds             // 000000003CB0: E05D1000 80050021
	s_add_u32 m0, m0, s76                                      // 000000003CB8: 807C4C7C
	buffer_load_dwordx4 a[32:35], v34, s[92:95], 0 offen       // 000000003CBC: E05C1000 80972022
	buffer_load_dwordx4 a[36:39], v34, s[92:95], 0 offen offset:1024// 000000003CC4: E05C1400 80972422
	v_mfma_f32_16x16x128_f8f6f4 v[120:123], a[8:15], v[160:167], 0// 000000003CCC: D3AD0078 0A034108
	v_mfma_f32_16x16x128_f8f6f4 v[124:127], a[8:15], v[176:183], 0// 000000003CD4: D3AD007C 0A036108
	buffer_load_dwordx4 a[40:43], v35, s[92:95], 0 offen       // 000000003CDC: E05C1000 80972823
	buffer_load_dwordx4 a[44:47], v35, s[92:95], 0 offen offset:1024// 000000003CE4: E05C1400 80972C23
	buffer_load_dword v7, s[28:31], 0 offen lds                // 000000003CEC: E0511000 80070007
	s_add_u32 m0, 0, s51                                       // 000000003CF4: 807C3380
	buffer_load_dword v24, v13, s[32:35], 0 offen              // 000000003CF8: E0501000 8008180D
	v_mul_f32_dpp v44, v23, v19 row_newbcast:0 row_mask:0xf bank_mask:0xf// 000000003D00: 0A5826FA FF015017
	v_mov_b32_e32 v45, v44                                     // 000000003D08: 7E5A032C
	v_pk_fma_f32 v[96:97], v[112:113], v[44:45], v[96:97]      // 000000003D0C: D3B04060 1D825970
	v_pk_fma_f32 v[98:99], v[114:115], v[44:45], v[98:99]      // 000000003D14: D3B04062 1D8A5972
	v_pk_fma_f32 v[104:105], v[120:121], v[44:45], v[104:105]  // 000000003D1C: D3B04068 1DA25978
	v_pk_fma_f32 v[106:107], v[122:123], v[44:45], v[106:107]  // 000000003D24: D3B0406A 1DAA597A
	v_mul_f32_dpp v44, v23, v20 row_newbcast:0 row_mask:0xf bank_mask:0xf// 000000003D2C: 0A5828FA FF015017
	v_mov_b32_e32 v45, v44                                     // 000000003D34: 7E5A032C
	v_pk_fma_f32 v[100:101], v[116:117], v[44:45], v[100:101]  // 000000003D38: D3B04064 1D925974
	v_pk_fma_f32 v[102:103], v[118:119], v[44:45], v[102:103]  // 000000003D40: D3B04066 1D9A5976
	v_pk_fma_f32 v[108:109], v[124:125], v[44:45], v[108:109]  // 000000003D48: D3B0406C 1DB2597C
	v_pk_fma_f32 v[110:111], v[126:127], v[44:45], v[110:111]  // 000000003D50: D3B0406E 1DBA597E
	s_waitcnt vmcnt(8)                                         // 000000003D58: BF8C0F78
	v_mfma_f32_16x16x128_f8f6f4 v[112:115], a[16:23], v[168:175], 0// 000000003D5C: D3AD0070 0A035110
	v_mfma_f32_16x16x128_f8f6f4 v[116:119], a[16:23], v[184:191], 0// 000000003D64: D3AD0074 0A037110
	buffer_load_dwordx4 a[48:51], v34, s[92:95], 0 offen offset:2048// 000000003D6C: E05C1800 80973022
	buffer_load_dwordx4 a[52:55], v34, s[92:95], 0 offen offset:3072// 000000003D74: E05C1C00 80973422
	v_mfma_f32_16x16x128_f8f6f4 v[120:123], a[24:31], v[168:175], 0// 000000003D7C: D3AD0078 0A035118
	v_mfma_f32_16x16x128_f8f6f4 v[124:127], a[24:31], v[184:191], 0// 000000003D84: D3AD007C 0A037118
	buffer_load_dwordx4 a[56:59], v35, s[92:95], 0 offen offset:2048// 000000003D8C: E05C1800 80973823
	buffer_load_dwordx4 a[60:63], v35, s[92:95], 0 offen offset:3072// 000000003D94: E05C1C00 80973C23
	v_mul_f32_dpp v44, v23, v21 row_newbcast:2 row_mask:0xf bank_mask:0xf// 000000003D9C: 0A582AFA FF015217
	v_mov_b32_e32 v45, v44                                     // 000000003DA4: 7E5A032C
	v_pk_fma_f32 v[96:97], v[112:113], v[44:45], v[96:97]      // 000000003DA8: D3B04060 1D825970
	v_pk_fma_f32 v[98:99], v[114:115], v[44:45], v[98:99]      // 000000003DB0: D3B04062 1D8A5972
	v_pk_fma_f32 v[104:105], v[120:121], v[44:45], v[104:105]  // 000000003DB8: D3B04068 1DA25978
	v_pk_fma_f32 v[106:107], v[122:123], v[44:45], v[106:107]  // 000000003DC0: D3B0406A 1DAA597A
	v_mul_f32_dpp v44, v23, v22 row_newbcast:2 row_mask:0xf bank_mask:0xf// 000000003DC8: 0A582CFA FF015217
	v_mov_b32_e32 v45, v44                                     // 000000003DD0: 7E5A032C
	v_pk_fma_f32 v[100:101], v[116:117], v[44:45], v[100:101]  // 000000003DD4: D3B04064 1D925974
	v_pk_fma_f32 v[102:103], v[118:119], v[44:45], v[102:103]  // 000000003DDC: D3B04066 1D9A5976
	v_pk_fma_f32 v[108:109], v[124:125], v[44:45], v[108:109]  // 000000003DE4: D3B0406C 1DB2597C
	v_pk_fma_f32 v[110:111], v[126:127], v[44:45], v[110:111]  // 000000003DEC: D3B0406E 1DBA597E
	s_add_u32 s60, 0x100, s80                                  // 000000003DF4: 803C50FF 00000100
	s_cmp_lt_u32 s60, s81                                      // 000000003DFC: BF0A513C
	s_cselect_b32 s4, s4, 0                                    // 000000003E00: 85048004
	s_add_u32 s32, s4, s32                                     // 000000003E04: 80202004
	s_addc_u32 s33, 0, s33                                     // 000000003E08: 82212180
	s_waitcnt vmcnt(4)                                         // 000000003E0C: BF8C0F74
	s_barrier                                                  // 000000003E10: BF8A0000
	v_mfma_f32_16x16x128_f8f6f4 v[112:115], a[32:39], v[160:167], 0// 000000003E14: D3AD0070 0A034120
	v_mfma_f32_16x16x128_f8f6f4 v[116:119], a[32:39], v[176:183], 0// 000000003E1C: D3AD0074 0A036120
	buffer_load_dwordx4 a[0:3], v34, s[24:27], 0 offen         // 000000003E24: E05C1000 80860022
	buffer_load_dwordx4 a[4:7], v34, s[24:27], 0 offen offset:1024// 000000003E2C: E05C1400 80860422
	buffer_load_dword v23, v11, s[32:35], 0 offen              // 000000003E34: E0501000 8008170B
	v_mfma_f32_16x16x128_f8f6f4 v[120:123], a[40:47], v[160:167], 0// 000000003E3C: D3AD0078 0A034128
	v_mfma_f32_16x16x128_f8f6f4 v[124:127], a[40:47], v[176:183], 0// 000000003E44: D3AD007C 0A036128
	buffer_load_dwordx4 a[8:11], v35, s[24:27], 0 offen        // 000000003E4C: E05C1000 80860823
	buffer_load_dwordx4 a[12:15], v35, s[24:27], 0 offen offset:1024// 000000003E54: E05C1400 80860C23
	v_mul_f32_dpp v44, v24, v19 row_newbcast:0 row_mask:0xf bank_mask:0xf// 000000003E5C: 0A5826FA FF015018
	v_mov_b32_e32 v45, v44                                     // 000000003E64: 7E5A032C
	v_pk_fma_f32 v[64:65], v[112:113], v[44:45], v[64:65]      // 000000003E68: D3B04040 1D025970
	v_pk_fma_f32 v[66:67], v[114:115], v[44:45], v[66:67]      // 000000003E70: D3B04042 1D0A5972
	v_pk_fma_f32 v[72:73], v[120:121], v[44:45], v[72:73]      // 000000003E78: D3B04048 1D225978
	v_pk_fma_f32 v[74:75], v[122:123], v[44:45], v[74:75]      // 000000003E80: D3B0404A 1D2A597A
	v_mul_f32_dpp v44, v24, v20 row_newbcast:0 row_mask:0xf bank_mask:0xf// 000000003E88: 0A5828FA FF015018
	v_mov_b32_e32 v45, v44                                     // 000000003E90: 7E5A032C
	v_pk_fma_f32 v[68:69], v[116:117], v[44:45], v[68:69]      // 000000003E94: D3B04044 1D125974
	v_pk_fma_f32 v[70:71], v[118:119], v[44:45], v[70:71]      // 000000003E9C: D3B04046 1D1A5976
	v_pk_fma_f32 v[76:77], v[124:125], v[44:45], v[76:77]      // 000000003EA4: D3B0404C 1D32597C
	v_pk_fma_f32 v[78:79], v[126:127], v[44:45], v[78:79]      // 000000003EAC: D3B0404E 1D3A597E
	s_waitcnt vmcnt(5)                                         // 000000003EB4: BF8C0F75
	v_mfma_f32_16x16x128_f8f6f4 v[112:115], a[48:55], v[168:175], 0// 000000003EB8: D3AD0070 0A035130
	s_waitcnt lgkmcnt(0)                                       // 000000003EC0: BF8CC07F
	s_barrier                                                  // 000000003EC4: BF8A0000
	ds_read_b128 v[128:131], v2                                // 000000003EC8: D9FE0000 80000002
	ds_read_b128 v[132:135], v2 offset:64                      // 000000003ED0: D9FE0040 84000002
	ds_read_b128 v[136:139], v2 offset:4224                    // 000000003ED8: D9FE1080 88000002
	ds_read_b128 v[140:143], v2 offset:4288                    // 000000003EE0: D9FE10C0 8C000002
	ds_read_b32 v15, v3 offset:8448                            // 000000003EE8: D86C2100 0F000003
	ds_read_b32 v16, v3 offset:8704                            // 000000003EF0: D86C2200 10000003
	v_mfma_f32_16x16x128_f8f6f4 v[116:119], a[48:55], v[184:191], 0// 000000003EF8: D3AD0074 0A037130
	buffer_load_dwordx4 a[16:19], v34, s[24:27], 0 offen offset:2048// 000000003F00: E05C1800 80861022
	buffer_load_dwordx4 a[20:23], v34, s[24:27], 0 offen offset:3072// 000000003F08: E05C1C00 80861422
	v_mfma_f32_16x16x128_f8f6f4 v[120:123], a[56:63], v[168:175], 0// 000000003F10: D3AD0078 0A035138
	ds_read_b128 v[144:147], v2 offset:512                     // 000000003F18: D9FE0200 90000002
	ds_read_b128 v[148:151], v2 offset:576                     // 000000003F20: D9FE0240 94000002
	ds_read_b128 v[152:155], v2 offset:4736                    // 000000003F28: D9FE1280 98000002
	ds_read_b128 v[156:159], v2 offset:4800                    // 000000003F30: D9FE12C0 9C000002
	ds_read_b32 v17, v3 offset:8960                            // 000000003F38: D86C2300 11000003
	ds_read_b32 v18, v3 offset:9216                            // 000000003F40: D86C2400 12000003
	v_mfma_f32_16x16x128_f8f6f4 v[124:127], a[56:63], v[184:191], 0// 000000003F48: D3AD007C 0A037138
	buffer_load_dwordx4 a[24:27], v35, s[24:27], 0 offen offset:2048// 000000003F50: E05C1800 80861823
	buffer_load_dwordx4 a[28:31], v35, s[24:27], 0 offen offset:3072// 000000003F58: E05C1C00 80861C23
	v_mul_f32_dpp v44, v24, v21 row_newbcast:2 row_mask:0xf bank_mask:0xf// 000000003F60: 0A582AFA FF015218
	v_mov_b32_e32 v45, v44                                     // 000000003F68: 7E5A032C
	v_pk_fma_f32 v[64:65], v[112:113], v[44:45], v[64:65]      // 000000003F6C: D3B04040 1D025970
	v_pk_fma_f32 v[66:67], v[114:115], v[44:45], v[66:67]      // 000000003F74: D3B04042 1D0A5972
	v_pk_fma_f32 v[72:73], v[120:121], v[44:45], v[72:73]      // 000000003F7C: D3B04048 1D225978
	v_pk_fma_f32 v[74:75], v[122:123], v[44:45], v[74:75]      // 000000003F84: D3B0404A 1D2A597A
	v_mul_f32_dpp v44, v24, v22 row_newbcast:2 row_mask:0xf bank_mask:0xf// 000000003F8C: 0A582CFA FF015218
	v_mov_b32_e32 v45, v44                                     // 000000003F94: 7E5A032C
	v_pk_fma_f32 v[68:69], v[116:117], v[44:45], v[68:69]      // 000000003F98: D3B04044 1D125974
	v_pk_fma_f32 v[70:71], v[118:119], v[44:45], v[70:71]      // 000000003FA0: D3B04046 1D1A5976
	v_pk_fma_f32 v[76:77], v[124:125], v[44:45], v[76:77]      // 000000003FA8: D3B0404C 1D32597C
	v_pk_fma_f32 v[78:79], v[126:127], v[44:45], v[78:79]      // 000000003FB0: D3B0404E 1D3A597E
	s_add_u32 s60, 0x200, s80                                  // 000000003FB8: 803C50FF 00000200
	s_cmp_lt_u32 s60, s81                                      // 000000003FC0: BF0A513C
	s_cselect_b32 s57, s57, 0                                  // 000000003FC4: 85398039
	s_cselect_b32 s3, s3, 0                                    // 000000003FC8: 85038003
	s_add_u32 s60, 0x200, s80                                  // 000000003FCC: 803C50FF 00000200
	s_cmp_lt_u32 s60, s81                                      // 000000003FD4: BF0A513C
	s_cselect_b32 s58, s58, 0                                  // 000000003FD8: 853A803A
	s_add_u32 s20, s57, s20                                    // 000000003FDC: 80141439
	s_addc_u32 s21, 0, s21                                     // 000000003FE0: 82151580
	s_add_u32 s28, s3, s28                                     // 000000003FE4: 801C1C03
	s_addc_u32 s29, 0, s29                                     // 000000003FE8: 821D1D80
	s_add_u32 s24, s58, s24                                    // 000000003FEC: 8018183A
	s_addc_u32 s25, 0, s25                                     // 000000003FF0: 82191980
	s_add_u32 s92, s90, s92                                    // 000000003FF4: 805C5C5A
	s_addc_u32 s93, 0, s93                                     // 000000003FF8: 825D5D80
	s_addk_i32 s80, 0x100                                      // 000000003FFC: B7500100
	s_cmp_lt_i32 s80, s81                                      // 000000004000: BF045150
	s_cbranch_scc0 label_0483                                  // 000000004004: BF840001
	s_branch label_02C2                                        // 000000004008: BF82FE3F

000000000000400c <label_0483>:
	s_mov_b32 s20, 0                                           // 00000000400C: BE940080
	s_cmp_lt_u32 s89, s66                                      // 000000004010: BF0A4259
	s_cselect_b32 s60, 0, 1                                    // 000000004014: 853C8180
	s_lshl1_add_u32 s20, s20, s60                              // 000000004018: 97143C14
	s_cmp_lt_u32 s88, s66                                      // 00000000401C: BF0A4258
	s_cselect_b32 s60, 0, 1                                    // 000000004020: 853C8180
	s_lshl1_add_u32 s20, s20, s60                              // 000000004024: 97143C14
	s_cmp_lt_u32 s87, s66                                      // 000000004028: BF0A4257
	s_cselect_b32 s60, 0, 1                                    // 00000000402C: 853C8180
	s_lshl1_add_u32 s20, s20, s60                              // 000000004030: 97143C14
	s_cmp_lt_u32 s86, s66                                      // 000000004034: BF0A4256
	s_cselect_b32 s60, 0, 1                                    // 000000004038: 853C8180
	s_lshl1_add_u32 s20, s20, s60                              // 00000000403C: 97143C14
	s_cmp_lt_u32 s85, s66                                      // 000000004040: BF0A4255
	s_cselect_b32 s60, 0, 1                                    // 000000004044: 853C8180
	s_lshl1_add_u32 s20, s20, s60                              // 000000004048: 97143C14
	s_cmp_lt_u32 s84, s66                                      // 00000000404C: BF0A4254
	s_cselect_b32 s60, 0, 1                                    // 000000004050: 853C8180
	s_lshl1_add_u32 s20, s20, s60                              // 000000004054: 97143C14
	s_cmp_lt_u32 s83, s66                                      // 000000004058: BF0A4253
	s_cselect_b32 s60, 0, 1                                    // 00000000405C: 853C8180
	s_lshl1_add_u32 s20, s20, s60                              // 000000004060: 97143C14
	s_cmp_lt_u32 s82, s66                                      // 000000004064: BF0A4252
	s_cselect_b32 s60, 0, 1                                    // 000000004068: 853C8180
	s_lshl1_add_u32 s20, s20, s60                              // 00000000406C: 97143C14
	s_waitcnt vmcnt(4)                                         // 000000004070: BF8C0F74
	buffer_load_dwordx4 a[0:3], v36, s[12:15], 0 offen         // 000000004074: E05C1000 80830024
	v_mul_f32_e32 v44, v96, v96                                // 00000000407C: 0A58C160
	v_mul_f32_e32 v45, v97, v97                                // 000000004080: 0A5AC361
	v_mul_f32_e32 v46, v98, v98                                // 000000004084: 0A5CC562
	v_mul_f32_e32 v47, v99, v99                                // 000000004088: 0A5EC763
	v_fma_f32 v44, v44, s77, v1                                // 00000000408C: D1CB002C 04049B2C
	v_fma_f32 v45, v45, s77, v1                                // 000000004094: D1CB002D 04049B2D
	v_fma_f32 v46, v46, s77, v1                                // 00000000409C: D1CB002E 04049B2E
	v_fma_f32 v47, v47, s77, v1                                // 0000000040A4: D1CB002F 04049B2F
	v_mul_f32_e32 v44, v44, v96                                // 0000000040AC: 0A58C12C
	v_mul_f32_e32 v45, v45, v97                                // 0000000040B0: 0A5AC32D
	v_mul_f32_e32 v46, v46, v98                                // 0000000040B4: 0A5CC52E
	v_mul_f32_e32 v47, v47, v99                                // 0000000040B8: 0A5EC72F
	v_mul_f32_e64 v44, v44, s6                                 // 0000000040BC: D105002C 00000D2C
	v_mul_f32_e64 v45, v45, s6                                 // 0000000040C4: D105002D 00000D2D
	v_mul_f32_e64 v46, v46, s6                                 // 0000000040CC: D105002E 00000D2E
	v_mul_f32_e64 v47, v47, s6                                 // 0000000040D4: D105002F 00000D2F
	v_exp_f32_e32 v44, v44                                     // 0000000040DC: 7E58412C
	v_exp_f32_e32 v45, v45                                     // 0000000040E0: 7E5A412D
	v_exp_f32_e32 v46, v46                                     // 0000000040E4: 7E5C412E
	v_exp_f32_e32 v47, v47                                     // 0000000040E8: 7E5E412F
	buffer_load_dwordx4 a[4:7], v36, s[12:15], 0 offen offset:1024// 0000000040EC: E05C1400 80830424
	v_add_f32_e64 v44, v44, 1.0                                // 0000000040F4: D101002C 0001E52C
	v_add_f32_e64 v45, v45, 1.0                                // 0000000040FC: D101002D 0001E52D
	v_add_f32_e64 v46, v46, 1.0                                // 000000004104: D101002E 0001E52E
	v_add_f32_e64 v47, v47, 1.0                                // 00000000410C: D101002F 0001E52F
	v_rcp_f32_e32 v44, v44                                     // 000000004114: 7E58452C
	v_rcp_f32_e32 v45, v45                                     // 000000004118: 7E5A452D
	v_rcp_f32_e32 v46, v46                                     // 00000000411C: 7E5C452E
	v_rcp_f32_e32 v47, v47                                     // 000000004120: 7E5E452F
	v_mul_f32_e32 v96, v96, v44                                // 000000004124: 0AC05960
	v_mul_f32_e32 v97, v97, v45                                // 000000004128: 0AC25B61
	v_mul_f32_e32 v98, v98, v46                                // 00000000412C: 0AC45D62
	v_mul_f32_e32 v99, v99, v47                                // 000000004130: 0AC65F63
	v_mul_f32_e32 v96, v96, v64                                // 000000004134: 0AC08160
	v_mul_f32_e32 v97, v97, v65                                // 000000004138: 0AC28361
	v_mul_f32_e32 v98, v98, v66                                // 00000000413C: 0AC48562
	v_mul_f32_e32 v99, v99, v67                                // 000000004140: 0AC68763
	buffer_load_dwordx4 a[8:11], v37, s[12:15], 0 offen        // 000000004144: E05C1000 80830825
	v_mul_f32_e32 v44, v100, v100                              // 00000000414C: 0A58C964
	v_mul_f32_e32 v45, v101, v101                              // 000000004150: 0A5ACB65
	v_mul_f32_e32 v46, v102, v102                              // 000000004154: 0A5CCD66
	v_mul_f32_e32 v47, v103, v103                              // 000000004158: 0A5ECF67
	v_fma_f32 v44, v44, s77, v1                                // 00000000415C: D1CB002C 04049B2C
	v_fma_f32 v45, v45, s77, v1                                // 000000004164: D1CB002D 04049B2D
	v_fma_f32 v46, v46, s77, v1                                // 00000000416C: D1CB002E 04049B2E
	v_fma_f32 v47, v47, s77, v1                                // 000000004174: D1CB002F 04049B2F
	v_mul_f32_e32 v44, v44, v100                               // 00000000417C: 0A58C92C
	v_mul_f32_e32 v45, v45, v101                               // 000000004180: 0A5ACB2D
	v_mul_f32_e32 v46, v46, v102                               // 000000004184: 0A5CCD2E
	v_mul_f32_e32 v47, v47, v103                               // 000000004188: 0A5ECF2F
	v_mul_f32_e64 v44, v44, s6                                 // 00000000418C: D105002C 00000D2C
	v_mul_f32_e64 v45, v45, s6                                 // 000000004194: D105002D 00000D2D
	v_mul_f32_e64 v46, v46, s6                                 // 00000000419C: D105002E 00000D2E
	v_mul_f32_e64 v47, v47, s6                                 // 0000000041A4: D105002F 00000D2F
	v_exp_f32_e32 v44, v44                                     // 0000000041AC: 7E58412C
	v_exp_f32_e32 v45, v45                                     // 0000000041B0: 7E5A412D
	v_exp_f32_e32 v46, v46                                     // 0000000041B4: 7E5C412E
	v_exp_f32_e32 v47, v47                                     // 0000000041B8: 7E5E412F
	buffer_load_dwordx4 a[12:15], v37, s[12:15], 0 offen offset:1024// 0000000041BC: E05C1400 80830C25
	v_add_f32_e64 v44, v44, 1.0                                // 0000000041C4: D101002C 0001E52C
	v_add_f32_e64 v45, v45, 1.0                                // 0000000041CC: D101002D 0001E52D
	v_add_f32_e64 v46, v46, 1.0                                // 0000000041D4: D101002E 0001E52E
	v_add_f32_e64 v47, v47, 1.0                                // 0000000041DC: D101002F 0001E52F
	v_rcp_f32_e32 v44, v44                                     // 0000000041E4: 7E58452C
	v_rcp_f32_e32 v45, v45                                     // 0000000041E8: 7E5A452D
	v_rcp_f32_e32 v46, v46                                     // 0000000041EC: 7E5C452E
	v_rcp_f32_e32 v47, v47                                     // 0000000041F0: 7E5E452F
	v_mul_f32_e32 v100, v100, v44                              // 0000000041F4: 0AC85964
	v_mul_f32_e32 v101, v101, v45                              // 0000000041F8: 0ACA5B65
	v_mul_f32_e32 v102, v102, v46                              // 0000000041FC: 0ACC5D66
	v_mul_f32_e32 v103, v103, v47                              // 000000004200: 0ACE5F67
	v_mul_f32_e32 v100, v100, v68                              // 000000004204: 0AC88964
	v_mul_f32_e32 v101, v101, v69                              // 000000004208: 0ACA8B65
	v_mul_f32_e32 v102, v102, v70                              // 00000000420C: 0ACC8D66
	v_mul_f32_e32 v103, v103, v71                              // 000000004210: 0ACE8F67
	s_waitcnt vmcnt(4)                                         // 000000004214: BF8C0F74
	buffer_load_dwordx4 a[16:19], v38, s[12:15], 0 offen       // 000000004218: E05C1000 80831026
	v_mul_f32_e32 v44, v104, v104                              // 000000004220: 0A58D168
	v_mul_f32_e32 v45, v105, v105                              // 000000004224: 0A5AD369
	v_mul_f32_e32 v46, v106, v106                              // 000000004228: 0A5CD56A
	v_mul_f32_e32 v47, v107, v107                              // 00000000422C: 0A5ED76B
	v_fma_f32 v44, v44, s77, v1                                // 000000004230: D1CB002C 04049B2C
	v_fma_f32 v45, v45, s77, v1                                // 000000004238: D1CB002D 04049B2D
	v_fma_f32 v46, v46, s77, v1                                // 000000004240: D1CB002E 04049B2E
	v_fma_f32 v47, v47, s77, v1                                // 000000004248: D1CB002F 04049B2F
	v_mul_f32_e32 v44, v44, v104                               // 000000004250: 0A58D12C
	v_mul_f32_e32 v45, v45, v105                               // 000000004254: 0A5AD32D
	v_mul_f32_e32 v46, v46, v106                               // 000000004258: 0A5CD52E
	v_mul_f32_e32 v47, v47, v107                               // 00000000425C: 0A5ED72F
	v_mul_f32_e64 v44, v44, s6                                 // 000000004260: D105002C 00000D2C
	v_mul_f32_e64 v45, v45, s6                                 // 000000004268: D105002D 00000D2D
	v_mul_f32_e64 v46, v46, s6                                 // 000000004270: D105002E 00000D2E
	v_mul_f32_e64 v47, v47, s6                                 // 000000004278: D105002F 00000D2F
	v_exp_f32_e32 v44, v44                                     // 000000004280: 7E58412C
	v_exp_f32_e32 v45, v45                                     // 000000004284: 7E5A412D
	v_exp_f32_e32 v46, v46                                     // 000000004288: 7E5C412E
	v_exp_f32_e32 v47, v47                                     // 00000000428C: 7E5E412F
	buffer_load_dwordx4 a[20:23], v38, s[12:15], 0 offen offset:1024// 000000004290: E05C1400 80831426
	v_add_f32_e64 v44, v44, 1.0                                // 000000004298: D101002C 0001E52C
	v_add_f32_e64 v45, v45, 1.0                                // 0000000042A0: D101002D 0001E52D
	v_add_f32_e64 v46, v46, 1.0                                // 0000000042A8: D101002E 0001E52E
	v_add_f32_e64 v47, v47, 1.0                                // 0000000042B0: D101002F 0001E52F
	v_rcp_f32_e32 v44, v44                                     // 0000000042B8: 7E58452C
	v_rcp_f32_e32 v45, v45                                     // 0000000042BC: 7E5A452D
	v_rcp_f32_e32 v46, v46                                     // 0000000042C0: 7E5C452E
	v_rcp_f32_e32 v47, v47                                     // 0000000042C4: 7E5E452F
	v_mul_f32_e32 v104, v104, v44                              // 0000000042C8: 0AD05968
	v_mul_f32_e32 v105, v105, v45                              // 0000000042CC: 0AD25B69
	v_mul_f32_e32 v106, v106, v46                              // 0000000042D0: 0AD45D6A
	v_mul_f32_e32 v107, v107, v47                              // 0000000042D4: 0AD65F6B
	v_mul_f32_e32 v104, v104, v72                              // 0000000042D8: 0AD09168
	v_mul_f32_e32 v105, v105, v73                              // 0000000042DC: 0AD29369
	v_mul_f32_e32 v106, v106, v74                              // 0000000042E0: 0AD4956A
	v_mul_f32_e32 v107, v107, v75                              // 0000000042E4: 0AD6976B
	buffer_load_dwordx4 a[24:27], v39, s[12:15], 0 offen       // 0000000042E8: E05C1000 80831827
	v_mul_f32_e32 v44, v108, v108                              // 0000000042F0: 0A58D96C
	v_mul_f32_e32 v45, v109, v109                              // 0000000042F4: 0A5ADB6D
	v_mul_f32_e32 v46, v110, v110                              // 0000000042F8: 0A5CDD6E
	v_mul_f32_e32 v47, v111, v111                              // 0000000042FC: 0A5EDF6F
	v_fma_f32 v44, v44, s77, v1                                // 000000004300: D1CB002C 04049B2C
	v_fma_f32 v45, v45, s77, v1                                // 000000004308: D1CB002D 04049B2D
	v_fma_f32 v46, v46, s77, v1                                // 000000004310: D1CB002E 04049B2E
	v_fma_f32 v47, v47, s77, v1                                // 000000004318: D1CB002F 04049B2F
	v_mul_f32_e32 v44, v44, v108                               // 000000004320: 0A58D92C
	v_mul_f32_e32 v45, v45, v109                               // 000000004324: 0A5ADB2D
	v_mul_f32_e32 v46, v46, v110                               // 000000004328: 0A5CDD2E
	v_mul_f32_e32 v47, v47, v111                               // 00000000432C: 0A5EDF2F
	v_mul_f32_e64 v44, v44, s6                                 // 000000004330: D105002C 00000D2C
	v_mul_f32_e64 v45, v45, s6                                 // 000000004338: D105002D 00000D2D
	v_mul_f32_e64 v46, v46, s6                                 // 000000004340: D105002E 00000D2E
	v_mul_f32_e64 v47, v47, s6                                 // 000000004348: D105002F 00000D2F
	v_exp_f32_e32 v44, v44                                     // 000000004350: 7E58412C
	v_exp_f32_e32 v45, v45                                     // 000000004354: 7E5A412D
	v_exp_f32_e32 v46, v46                                     // 000000004358: 7E5C412E
	v_exp_f32_e32 v47, v47                                     // 00000000435C: 7E5E412F
	buffer_load_dwordx4 a[28:31], v39, s[12:15], 0 offen offset:1024// 000000004360: E05C1400 80831C27
	v_add_f32_e64 v44, v44, 1.0                                // 000000004368: D101002C 0001E52C
	v_add_f32_e64 v45, v45, 1.0                                // 000000004370: D101002D 0001E52D
	v_add_f32_e64 v46, v46, 1.0                                // 000000004378: D101002E 0001E52E
	v_add_f32_e64 v47, v47, 1.0                                // 000000004380: D101002F 0001E52F
	v_rcp_f32_e32 v44, v44                                     // 000000004388: 7E58452C
	v_rcp_f32_e32 v45, v45                                     // 00000000438C: 7E5A452D
	v_rcp_f32_e32 v46, v46                                     // 000000004390: 7E5C452E
	v_rcp_f32_e32 v47, v47                                     // 000000004394: 7E5E452F
	v_mul_f32_e32 v108, v108, v44                              // 000000004398: 0AD8596C
	v_mul_f32_e32 v109, v109, v45                              // 00000000439C: 0ADA5B6D
	v_mul_f32_e32 v110, v110, v46                              // 0000000043A0: 0ADC5D6E
	v_mul_f32_e32 v111, v111, v47                              // 0000000043A4: 0ADE5F6F
	v_mul_f32_e32 v108, v108, v76                              // 0000000043A8: 0AD8996C
	v_mul_f32_e32 v109, v109, v77                              // 0000000043AC: 0ADA9B6D
	v_mul_f32_e32 v110, v110, v78                              // 0000000043B0: 0ADC9D6E
	v_mul_f32_e32 v111, v111, v79                              // 0000000043B4: 0ADE9F6F
	v_lshlrev_b32_e32 v44, 2, v0                               // 0000000043B8: 24580082
	s_mul_i32 s60, s82, s71                                    // 0000000043BC: 923C4752
	v_add_u32_e64 v80, v44, s60                                // 0000000043C0: D1340050 0000792C
	v_mov_b32_e32 v81, 0                                       // 0000000043C8: 7EA20280
	s_mul_i32 s60, s83, s71                                    // 0000000043CC: 923C4753
	v_add_u32_e64 v82, v44, s60                                // 0000000043D0: D1340052 0000792C
	v_mov_b32_e32 v83, 0                                       // 0000000043D8: 7EA60280
	s_mul_i32 s60, s84, s71                                    // 0000000043DC: 923C4754
	v_add_u32_e64 v84, v44, s60                                // 0000000043E0: D1340054 0000792C
	v_mov_b32_e32 v85, 0                                       // 0000000043E8: 7EAA0280
	s_mul_i32 s60, s85, s71                                    // 0000000043EC: 923C4755
	v_add_u32_e64 v86, v44, s60                                // 0000000043F0: D1340056 0000792C
	v_mov_b32_e32 v87, 0                                       // 0000000043F8: 7EAE0280
	s_mul_i32 s60, s86, s71                                    // 0000000043FC: 923C4756
	v_add_u32_e64 v88, v44, s60                                // 000000004400: D1340058 0000792C
	v_mov_b32_e32 v89, 0                                       // 000000004408: 7EB20280
	s_mul_i32 s60, s87, s71                                    // 00000000440C: 923C4757
	v_add_u32_e64 v90, v44, s60                                // 000000004410: D134005A 0000792C
	v_mov_b32_e32 v91, 0                                       // 000000004418: 7EB60280
	s_mul_i32 s60, s88, s71                                    // 00000000441C: 923C4758
	v_add_u32_e64 v92, v44, s60                                // 000000004420: D134005C 0000792C
	v_mov_b32_e32 v93, 0                                       // 000000004428: 7EBA0280
	s_mul_i32 s60, s89, s71                                    // 00000000442C: 923C4759
	v_add_u32_e64 v94, v44, s60                                // 000000004430: D134005E 0000792C
	v_mov_b32_e32 v95, 0                                       // 000000004438: 7EBE0280
	buffer_load_dword v23, v6, s[16:19], 0 offen               // 00000000443C: E0501000 80041706
	v_mov_b32_e32 v28, 0x358637bd                              // 000000004444: 7E3802FF 358637BD
	v_mov_b32_e32 v29, 0x358637bd                              // 00000000444C: 7E3A02FF 358637BD
	v_max3_f32 v28, |v96|, |v97|, v28                          // 000000004454: D1D3031C 0472C360
	v_max3_f32 v28, |v98|, |v99|, v28                          // 00000000445C: D1D3031C 0472C762
	v_max3_f32 v29, |v100|, |v101|, v29                        // 000000004464: D1D3031D 0476CB64
	v_max3_f32 v29, |v102|, |v103|, v29                        // 00000000446C: D1D3031D 0476CF66
	v_max3_f32 v28, |v104|, |v105|, v28                        // 000000004474: D1D3031C 0472D368
	v_max3_f32 v28, |v106|, |v107|, v28                        // 00000000447C: D1D3031C 0472D76A
	v_max3_f32 v29, |v108|, |v109|, v29                        // 000000004484: D1D3031D 0476DB6C
	v_max3_f32 v29, |v110|, |v111|, v29                        // 00000000448C: D1D3031D 0476DF6E
	v_mov_b32_e32 v44, v28                                     // 000000004494: 7E58031C
	s_nop 1                                                    // 000000004498: BF800001
	v_permlane32_swap_b32_e32 v44, v28                         // 00000000449C: 7E58B51C
	v_max_f32_e32 v28, v44, v28                                // 0000000044A0: 1638392C
	v_mov_b32_e32 v44, v28                                     // 0000000044A4: 7E58031C
	s_nop 1                                                    // 0000000044A8: BF800001
	v_permlane16_swap_b32_e32 v44, v28                         // 0000000044AC: 7E58B31C
	v_max_f32_e32 v28, v44, v28                                // 0000000044B0: 1638392C
	v_mov_b32_e32 v44, v29                                     // 0000000044B4: 7E58031D
	s_nop 1                                                    // 0000000044B8: BF800001
	v_permlane32_swap_b32_e32 v44, v29                         // 0000000044BC: 7E58B51D
	v_max_f32_e32 v29, v44, v29                                // 0000000044C0: 163A3B2C
	v_mov_b32_e32 v44, v29                                     // 0000000044C4: 7E58031D
	s_nop 1                                                    // 0000000044C8: BF800001
	v_permlane16_swap_b32_e32 v44, v29                         // 0000000044CC: 7E58B31D
	v_max_f32_e32 v29, v44, v29                                // 0000000044D0: 163A3B2C
	v_lshlrev_b32_e32 v44, 2, v0                               // 0000000044D4: 24580082
	s_mul_i32 s60, 64, s7                                      // 0000000044D8: 923C07C0
	v_add_u32_e32 v44, s60, v44                                // 0000000044DC: 6858583C
	s_mov_b32 s60, 0xffff                                      // 0000000044E0: BEBC00FF 0000FFFF
	s_mov_b32 s61, 0                                           // 0000000044E8: BEBD0080
	s_mov_b64 exec, s[60:61]                                   // 0000000044EC: BEFE013C
	ds_write_b32 v44, v28 offset:18944                         // 0000000044F0: D81A4A00 00001C2C
	ds_write_b32 v44, v29 offset:19200                         // 0000000044F8: D81A4B00 00001D2C
	s_mov_b32 s60, -1                                          // 000000004500: BEBC00C1
	s_mov_b32 s61, -1                                          // 000000004504: BEBD00C1
	s_mov_b64 exec, s[60:61]                                   // 000000004508: BEFE013C
	s_waitcnt lgkmcnt(0)                                       // 00000000450C: BF8CC07F
	s_barrier                                                  // 000000004510: BF8A0000
	v_lshlrev_b32_e32 v44, 2, v0                               // 000000004514: 24580082
	ds_read_b32 v112, v44 offset:18944                         // 000000004518: D86C4A00 7000002C
	ds_read_b32 v113, v44 offset:19200                         // 000000004520: D86C4B00 7100002C
	s_waitcnt lgkmcnt(0)                                       // 000000004528: BF8CC07F
	v_mov_b32_e32 v44, v112                                    // 00000000452C: 7E580370
	s_nop 1                                                    // 000000004530: BF800001
	v_permlane32_swap_b32_e32 v44, v112                        // 000000004534: 7E58B570
	v_max_f32_e32 v112, v44, v112                              // 000000004538: 16E0E12C
	v_mov_b32_e32 v44, v112                                    // 00000000453C: 7E580370
	s_nop 1                                                    // 000000004540: BF800001
	v_permlane16_swap_b32_e32 v44, v112                        // 000000004544: 7E58B370
	v_max_f32_e32 v112, v44, v112                              // 000000004548: 16E0E12C
	v_mov_b32_e32 v44, v113                                    // 00000000454C: 7E580371
	s_nop 1                                                    // 000000004550: BF800001
	v_permlane32_swap_b32_e32 v44, v113                        // 000000004554: 7E58B571
	v_max_f32_e32 v113, v44, v113                              // 000000004558: 16E2E32C
	v_mov_b32_e32 v44, v113                                    // 00000000455C: 7E580371
	s_nop 1                                                    // 000000004560: BF800001
	v_permlane16_swap_b32_e32 v44, v113                        // 000000004564: 7E58B371
	v_max_f32_e32 v113, v44, v113                              // 000000004568: 16E2E32C
	v_max_f32_e32 v28, v112, v28                               // 00000000456C: 16383970
	v_max_f32_e32 v29, v113, v29                               // 000000004570: 163A3B71
	v_rcp_f32_e32 v28, v28                                     // 000000004574: 7E38451C
	v_rcp_f32_e32 v29, v29                                     // 000000004578: 7E3A451D
	v_mov_b32_e32 v44, 0x43e00000                              // 00000000457C: 7E5802FF 43E00000
	v_mul_f32_e32 v28, v44, v28                                // 000000004584: 0A38392C
	v_mul_f32_e32 v29, v44, v29                                // 000000004588: 0A3A3B2C
	v_mul_f32_e32 v96, v28, v96                                // 00000000458C: 0AC0C11C
	v_mul_f32_e32 v97, v28, v97                                // 000000004590: 0AC2C31C
	v_mul_f32_e32 v98, v28, v98                                // 000000004594: 0AC4C51C
	v_mul_f32_e32 v99, v28, v99                                // 000000004598: 0AC6C71C
	v_cvt_pk_fp8_f32 v96, v96, v97                             // 00000000459C: D2A20060 0002C360
	v_cvt_pk_fp8_f32 v96, v98, v99 op_sel:[0,0,1]              // 0000000045A4: D2A24060 0002C762
	v_mul_f32_e32 v100, v29, v100                              // 0000000045AC: 0AC8C91D
	v_mul_f32_e32 v101, v29, v101                              // 0000000045B0: 0ACACB1D
	v_mul_f32_e32 v102, v29, v102                              // 0000000045B4: 0ACCCD1D
	v_mul_f32_e32 v103, v29, v103                              // 0000000045B8: 0ACECF1D
	v_cvt_pk_fp8_f32 v97, v100, v101                           // 0000000045BC: D2A20061 0002CB64
	v_cvt_pk_fp8_f32 v97, v102, v103 op_sel:[0,0,1]            // 0000000045C4: D2A24061 0002CF66
	v_mul_f32_e32 v104, v28, v104                              // 0000000045CC: 0AD0D11C
	v_mul_f32_e32 v105, v28, v105                              // 0000000045D0: 0AD2D31C
	v_mul_f32_e32 v106, v28, v106                              // 0000000045D4: 0AD4D51C
	v_mul_f32_e32 v107, v28, v107                              // 0000000045D8: 0AD6D71C
	v_cvt_pk_fp8_f32 v98, v104, v105                           // 0000000045DC: D2A20062 0002D368
	v_cvt_pk_fp8_f32 v98, v106, v107 op_sel:[0,0,1]            // 0000000045E4: D2A24062 0002D76A
	v_mul_f32_e32 v108, v29, v108                              // 0000000045EC: 0AD8D91D
	v_mul_f32_e32 v109, v29, v109                              // 0000000045F0: 0ADADB1D
	v_mul_f32_e32 v110, v29, v110                              // 0000000045F4: 0ADCDD1D
	v_mul_f32_e32 v111, v29, v111                              // 0000000045F8: 0ADEDF1D
	v_cvt_pk_fp8_f32 v99, v108, v109                           // 0000000045FC: D2A20063 0002DB6C
	v_cvt_pk_fp8_f32 v99, v110, v111 op_sel:[0,0,1]            // 000000004604: D2A24063 0002DF6E
	v_rcp_f32_e32 v30, v28                                     // 00000000460C: 7E3C451C
	v_rcp_f32_e32 v31, v29                                     // 000000004610: 7E3E451D
	v_lshrrev_b32_e32 v44, 5, v0                               // 000000004614: 20580085
	v_lshlrev_b32_e32 v45, 6, v44                              // 000000004618: 245A5886
	v_and_b32_e32 v44, 31, v0                                  // 00000000461C: 2658009F
	v_lshrrev_b32_e32 v46, 4, v44                              // 000000004620: 205C5884
	v_add_u32_e32 v45, v46, v45                                // 000000004624: 685A5B2E
	v_and_b32_e32 v44, 15, v0                                  // 000000004628: 2658008F
	v_lshlrev_b32_e32 v44, 1, v44                              // 00000000462C: 24585881
	v_add_u32_e32 v45, v44, v45                                // 000000004630: 685A5B2C
	v_lshlrev_b32_e32 v44, 2, v45                              // 000000004634: 24585A82
	s_mov_b32 s60, 0                                           // 000000004638: BEBC0080
	s_lshr_b32 s61, s7, 1                                      // 00000000463C: 8F3D8107
	s_mul_i32 s61, s61, 0x200                                  // 000000004640: 923DFF3D 00000200
	s_add_u32 s60, s61, s60                                    // 000000004648: 803C3C3D
	s_and_b32 s61, s7, 1                                       // 00000000464C: 863D8107
	s_mul_i32 s61, s61, 0x80                                   // 000000004650: 923DFF3D 00000080
	s_add_u32 s60, s61, s60                                    // 000000004658: 803C3C3D
	v_add_u32_e64 v44, v44, s60                                // 00000000465C: D134002C 0000792C
	ds_write_b32 v44, v96 offset:20992                         // 000000004664: D81A5200 0000602C
	ds_write_b32 v44, v97 offset:23040                         // 00000000466C: D81A5A00 0000612C
	ds_write_b32 v44, v98 offset:22016                         // 000000004674: D81A5600 0000622C
	ds_write_b32 v44, v99 offset:24064                         // 00000000467C: D81A5E00 0000632C
	s_waitcnt lgkmcnt(0)                                       // 000000004684: BF8CC07F
	s_barrier                                                  // 000000004688: BF8A0000
	v_and_b32_e32 v44, 31, v0                                  // 00000000468C: 2658009F
	v_lshrrev_b32_e32 v44, 4, v44                              // 000000004690: 20585884
	v_lshlrev_b32_e32 v45, 5, v44                              // 000000004694: 245A5885
	v_lshrrev_b32_e32 v44, 5, v0                               // 000000004698: 20580085
	v_lshlrev_b32_e32 v44, 7, v44                              // 00000000469C: 24585887
	v_add_u32_e32 v45, v44, v45                                // 0000000046A0: 685A5B2C
	v_and_b32_e32 v44, 15, v0                                  // 0000000046A4: 2658008F
	v_lshlrev_b32_e32 v44, 1, v44                              // 0000000046A8: 24585881
	v_add_u32_e32 v45, v44, v45                                // 0000000046AC: 685A5B2C
	v_lshlrev_b32_e32 v44, 2, v45                              // 0000000046B0: 24585A82
	ds_read_b64 v[96:97], v44 offset:20992                     // 0000000046B4: D8EC5200 6000002C
	ds_read_b64 v[98:99], v44 offset:21248                     // 0000000046BC: D8EC5300 6200002C
	ds_read_b64 v[100:101], v44 offset:22016                   // 0000000046C4: D8EC5600 6400002C
	ds_read_b64 v[102:103], v44 offset:22272                   // 0000000046CC: D8EC5700 6600002C
	ds_read_b64 v[104:105], v44 offset:23040                   // 0000000046D4: D8EC5A00 6800002C
	ds_read_b64 v[106:107], v44 offset:23296                   // 0000000046DC: D8EC5B00 6A00002C
	ds_read_b64 v[108:109], v44 offset:24064                   // 0000000046E4: D8EC5E00 6C00002C
	ds_read_b64 v[110:111], v44 offset:24320                   // 0000000046EC: D8EC5F00 6E00002C
	s_add_u32 s12, s56, s12                                    // 0000000046F4: 800C0C38
	s_addc_u32 s13, 0, s13                                     // 0000000046F8: 820D0D80
	s_add_u32 s16, s79, s16                                    // 0000000046FC: 8010104F
	s_addc_u32 s17, 0, s17                                     // 000000004700: 82111180
	s_waitcnt lgkmcnt(0)                                       // 000000004704: BF8CC07F
	s_barrier                                                  // 000000004708: BF8A0000
	v_mov_b32_e32 v128, 0                                      // 00000000470C: 7F000280
	v_mov_b32_e32 v160, 0                                      // 000000004710: 7F400280
	v_mov_b32_e32 v129, 0                                      // 000000004714: 7F020280
	v_mov_b32_e32 v161, 0                                      // 000000004718: 7F420280
	v_mov_b32_e32 v130, 0                                      // 00000000471C: 7F040280
	v_mov_b32_e32 v162, 0                                      // 000000004720: 7F440280
	v_mov_b32_e32 v131, 0                                      // 000000004724: 7F060280
	v_mov_b32_e32 v163, 0                                      // 000000004728: 7F460280
	v_mov_b32_e32 v132, 0                                      // 00000000472C: 7F080280
	v_mov_b32_e32 v164, 0                                      // 000000004730: 7F480280
	v_mov_b32_e32 v133, 0                                      // 000000004734: 7F0A0280
	v_mov_b32_e32 v165, 0                                      // 000000004738: 7F4A0280
	v_mov_b32_e32 v134, 0                                      // 00000000473C: 7F0C0280
	v_mov_b32_e32 v166, 0                                      // 000000004740: 7F4C0280
	v_mov_b32_e32 v135, 0                                      // 000000004744: 7F0E0280
	v_mov_b32_e32 v167, 0                                      // 000000004748: 7F4E0280
	v_mov_b32_e32 v136, 0                                      // 00000000474C: 7F100280
	v_mov_b32_e32 v168, 0                                      // 000000004750: 7F500280
	v_mov_b32_e32 v137, 0                                      // 000000004754: 7F120280
	v_mov_b32_e32 v169, 0                                      // 000000004758: 7F520280
	v_mov_b32_e32 v138, 0                                      // 00000000475C: 7F140280
	v_mov_b32_e32 v170, 0                                      // 000000004760: 7F540280
	v_mov_b32_e32 v139, 0                                      // 000000004764: 7F160280
	v_mov_b32_e32 v171, 0                                      // 000000004768: 7F560280
	v_mov_b32_e32 v140, 0                                      // 00000000476C: 7F180280
	v_mov_b32_e32 v172, 0                                      // 000000004770: 7F580280
	v_mov_b32_e32 v141, 0                                      // 000000004774: 7F1A0280
	v_mov_b32_e32 v173, 0                                      // 000000004778: 7F5A0280
	v_mov_b32_e32 v142, 0                                      // 00000000477C: 7F1C0280
	v_mov_b32_e32 v174, 0                                      // 000000004780: 7F5C0280
	v_mov_b32_e32 v143, 0                                      // 000000004784: 7F1E0280
	v_mov_b32_e32 v175, 0                                      // 000000004788: 7F5E0280
	ds_write_b64 v4, v[128:129] offset:20992                   // 00000000478C: D89A5200 00008004
	ds_write_b64 v4, v[130:131] offset:29696                   // 000000004794: D89A7400 00008204
	ds_write_b64 v4, v[132:133] offset:23168                   // 00000000479C: D89A5A80 00008404
	ds_write_b64 v4, v[134:135] offset:31872                   // 0000000047A4: D89A7C80 00008604
	ds_write_b64 v4, v[136:137] offset:25344                   // 0000000047AC: D89A6300 00008804
	ds_write_b64 v4, v[138:139] offset:34048                   // 0000000047B4: D89A8500 00008A04
	ds_write_b64 v4, v[140:141] offset:27520                   // 0000000047BC: D89A6B80 00008C04
	ds_write_b64 v4, v[142:143] offset:36224                   // 0000000047C4: D89A8D80 00008E04
	s_mov_b32 s80, 0                                           // 0000000047CC: BED00080
	s_waitcnt vmcnt(0) expcnt(0) lgkmcnt(0)                    // 0000000047D0: BF8C0000

00000000000047d4 <label_0675>:
	s_waitcnt vmcnt(4) lgkmcnt(0)                              // 0000000047D4: BF8C0074
	s_barrier                                                  // 0000000047D8: BF8A0000
	v_mfma_f32_16x16x128_f8f6f4 v[128:131], a[0:7], v[96:103], 0// 0000000047DC: D3AD0080 0A02C100
	ds_read_b32 v64, v5 offset:20992                           // 0000000047E4: D86C5200 40000005
	ds_read_b32 v65, v5 offset:25344                           // 0000000047EC: D86C6300 41000005
	ds_read_b32 v66, v5 offset:21000                           // 0000000047F4: D86C5208 42000005
	ds_read_b32 v67, v5 offset:25352                           // 0000000047FC: D86C6308 43000005
	v_mfma_f32_16x16x128_f8f6f4 v[132:135], a[0:7], v[104:111], 0// 000000004804: D3AD0084 0A02D100
	buffer_load_dwordx4 a[32:35], v36, s[12:15], 0 offen       // 00000000480C: E05C1000 80832024
	buffer_load_dwordx4 a[36:39], v36, s[12:15], 0 offen offset:1024// 000000004814: E05C1400 80832424
	v_mfma_f32_16x16x128_f8f6f4 v[136:139], a[8:15], v[96:103], 0// 00000000481C: D3AD0088 0A02C108
	ds_read_b32 v68, v5 offset:21024                           // 000000004824: D86C5220 44000005
	ds_read_b32 v69, v5 offset:25376                           // 00000000482C: D86C6320 45000005
	ds_read_b32 v70, v5 offset:21032                           // 000000004834: D86C5228 46000005
	ds_read_b32 v71, v5 offset:25384                           // 00000000483C: D86C6328 47000005
	v_mfma_f32_16x16x128_f8f6f4 v[140:143], a[8:15], v[104:111], 0// 000000004844: D3AD008C 0A02D108
	buffer_load_dwordx4 a[40:43], v37, s[12:15], 0 offen       // 00000000484C: E05C1000 80832825
	buffer_load_dwordx4 a[44:47], v37, s[12:15], 0 offen offset:1024// 000000004854: E05C1400 80832C25
	buffer_load_dword v24, v6, s[16:19], 0 offen               // 00000000485C: E0501000 80041806
	s_waitcnt vmcnt(5)                                         // 000000004864: BF8C0F75
	v_mfma_f32_16x16x128_f8f6f4 v[144:147], a[16:23], v[96:103], 0// 000000004868: D3AD0090 0A02C110
	ds_read_b32 v72, v5 offset:29696                           // 000000004870: D86C7400 48000005
	ds_read_b32 v73, v5 offset:34048                           // 000000004878: D86C8500 49000005
	ds_read_b32 v74, v5 offset:29704                           // 000000004880: D86C7408 4A000005
	ds_read_b32 v75, v5 offset:34056                           // 000000004888: D86C8508 4B000005
	ds_write_b64 v4, v[160:161] offset:38400                   // 000000004890: D89A9600 0000A004
	ds_write_b64 v4, v[162:163] offset:47104                   // 000000004898: D89AB800 0000A204
	ds_write_b64 v4, v[164:165] offset:40576                   // 0000000048A0: D89A9E80 0000A404
	ds_write_b64 v4, v[166:167] offset:49280                   // 0000000048A8: D89AC080 0000A604
	v_mfma_f32_16x16x128_f8f6f4 v[148:151], a[16:23], v[104:111], 0// 0000000048B0: D3AD0094 0A02D110
	buffer_load_dwordx4 a[48:51], v38, s[12:15], 0 offen       // 0000000048B8: E05C1000 80833026
	buffer_load_dwordx4 a[52:55], v38, s[12:15], 0 offen offset:1024// 0000000048C0: E05C1400 80833426
	v_mfma_f32_16x16x128_f8f6f4 v[152:155], a[24:31], v[96:103], 0// 0000000048C8: D3AD0098 0A02C118
	ds_read_b32 v76, v5 offset:29728                           // 0000000048D0: D86C7420 4C000005
	ds_read_b32 v77, v5 offset:34080                           // 0000000048D8: D86C8520 4D000005
	ds_read_b32 v78, v5 offset:29736                           // 0000000048E0: D86C7428 4E000005
	ds_read_b32 v79, v5 offset:34088                           // 0000000048E8: D86C8528 4F000005
	ds_write_b64 v4, v[168:169] offset:42752                   // 0000000048F0: D89AA700 0000A804
	ds_write_b64 v4, v[170:171] offset:51456                   // 0000000048F8: D89AC900 0000AA04
	ds_write_b64 v4, v[172:173] offset:44928                   // 000000004900: D89AAF80 0000AC04
	ds_write_b64 v4, v[174:175] offset:53632                   // 000000004908: D89AD180 0000AE04
	v_mfma_f32_16x16x128_f8f6f4 v[156:159], a[24:31], v[104:111], 0// 000000004910: D3AD009C 0A02D118
	buffer_load_dwordx4 a[56:59], v39, s[12:15], 0 offen       // 000000004918: E05C1000 80833827
	buffer_load_dwordx4 a[60:63], v39, s[12:15], 0 offen offset:1024// 000000004920: E05C1400 80833C27
	v_mul_f32_dpp v44, v23, v30 row_newbcast:0 row_mask:0xf bank_mask:0xf// 000000004928: 0A583CFA FF015017
	v_mov_b32_e32 v45, v44                                     // 000000004930: 7E5A032C
	v_pk_mul_f32 v[128:129], v[44:45], v[128:129]              // 000000004934: D3B14080 1803012C
	v_pk_mul_f32 v[130:131], v[44:45], v[130:131]              // 00000000493C: D3B14082 1803052C
	v_pk_mul_f32 v[136:137], v[44:45], v[136:137]              // 000000004944: D3B14088 1803112C
	v_pk_mul_f32 v[138:139], v[44:45], v[138:139]              // 00000000494C: D3B1408A 1803152C
	v_mul_f32_dpp v44, v23, v30 row_newbcast:1 row_mask:0xf bank_mask:0xf// 000000004954: 0A583CFA FF015117
	v_mov_b32_e32 v45, v44                                     // 00000000495C: 7E5A032C
	v_pk_mul_f32 v[144:145], v[44:45], v[144:145]              // 000000004960: D3B14090 1803212C
	v_pk_mul_f32 v[146:147], v[44:45], v[146:147]              // 000000004968: D3B14092 1803252C
	v_pk_mul_f32 v[152:153], v[44:45], v[152:153]              // 000000004970: D3B14098 1803312C
	v_pk_mul_f32 v[154:155], v[44:45], v[154:155]              // 000000004978: D3B1409A 1803352C
	v_mul_f32_dpp v44, v23, v31 row_newbcast:0 row_mask:0xf bank_mask:0xf// 000000004980: 0A583EFA FF015017
	v_mov_b32_e32 v45, v44                                     // 000000004988: 7E5A032C
	v_pk_mul_f32 v[132:133], v[44:45], v[132:133]              // 00000000498C: D3B14084 1803092C
	v_pk_mul_f32 v[134:135], v[44:45], v[134:135]              // 000000004994: D3B14086 18030D2C
	v_pk_mul_f32 v[140:141], v[44:45], v[140:141]              // 00000000499C: D3B1408C 1803192C
	v_pk_mul_f32 v[142:143], v[44:45], v[142:143]              // 0000000049A4: D3B1408E 18031D2C
	v_mul_f32_dpp v44, v23, v31 row_newbcast:1 row_mask:0xf bank_mask:0xf// 0000000049AC: 0A583EFA FF015117
	v_mov_b32_e32 v45, v44                                     // 0000000049B4: 7E5A032C
	v_pk_mul_f32 v[148:149], v[44:45], v[148:149]              // 0000000049B8: D3B14094 1803292C
	v_pk_mul_f32 v[150:151], v[44:45], v[150:151]              // 0000000049C0: D3B14096 18032D2C
	v_pk_mul_f32 v[156:157], v[44:45], v[156:157]              // 0000000049C8: D3B1409C 1803392C
	v_pk_mul_f32 v[158:159], v[44:45], v[158:159]              // 0000000049D0: D3B1409E 18033D2C
	s_add_u32 s60, 0x200, s80                                  // 0000000049D8: 803C50FF 00000200
	s_cmp_lt_u32 s60, s81                                      // 0000000049E0: BF0A513C
	s_cselect_b32 s56, s56, 0                                  // 0000000049E4: 85388038
	s_cselect_b32 s78, s78, 0                                  // 0000000049E8: 854E804E
	s_cselect_b32 s79, s79, 0                                  // 0000000049EC: 854F804F
	s_add_u32 s12, s56, s12                                    // 0000000049F0: 800C0C38
	s_addc_u32 s13, 0, s13                                     // 0000000049F4: 820D0D80
	s_add_u32 s16, s79, s16                                    // 0000000049F8: 8010104F
	s_addc_u32 s17, 0, s17                                     // 0000000049FC: 82111180
	v_mov_b32_e32 v44, v25                                     // 000000004A00: 7E580319
	v_mov_b32_e32 v45, v25                                     // 000000004A04: 7E5A0319
	v_pk_mul_f32 v[128:129], v[44:45], v[128:129]              // 000000004A08: D3B14080 1803012C
	v_pk_mul_f32 v[130:131], v[44:45], v[130:131]              // 000000004A10: D3B14082 1803052C
	v_pk_mul_f32 v[136:137], v[44:45], v[136:137]              // 000000004A18: D3B14088 1803112C
	v_pk_mul_f32 v[138:139], v[44:45], v[138:139]              // 000000004A20: D3B1408A 1803152C
	v_pk_mul_f32 v[144:145], v[44:45], v[144:145]              // 000000004A28: D3B14090 1803212C
	v_pk_mul_f32 v[146:147], v[44:45], v[146:147]              // 000000004A30: D3B14092 1803252C
	v_pk_mul_f32 v[152:153], v[44:45], v[152:153]              // 000000004A38: D3B14098 1803312C
	v_pk_mul_f32 v[154:155], v[44:45], v[154:155]              // 000000004A40: D3B1409A 1803352C
	v_mov_b32_e32 v44, v26                                     // 000000004A48: 7E58031A
	v_mov_b32_e32 v45, v26                                     // 000000004A4C: 7E5A031A
	v_pk_mul_f32 v[132:133], v[44:45], v[132:133]              // 000000004A50: D3B14084 1803092C
	v_pk_mul_f32 v[134:135], v[44:45], v[134:135]              // 000000004A58: D3B14086 18030D2C
	v_pk_mul_f32 v[140:141], v[44:45], v[140:141]              // 000000004A60: D3B1408C 1803192C
	v_pk_mul_f32 v[142:143], v[44:45], v[142:143]              // 000000004A68: D3B1408E 18031D2C
	v_pk_mul_f32 v[148:149], v[44:45], v[148:149]              // 000000004A70: D3B14094 1803292C
	v_pk_mul_f32 v[150:151], v[44:45], v[150:151]              // 000000004A78: D3B14096 18032D2C
	v_pk_mul_f32 v[156:157], v[44:45], v[156:157]              // 000000004A80: D3B1409C 1803392C
	v_pk_mul_f32 v[158:159], v[44:45], v[158:159]              // 000000004A88: D3B1409E 18033D2C
	v_cvt_pk_bf16_f32 v128, v128, v129                         // 000000004A90: D2680080 00030380
	v_cvt_pk_bf16_f32 v129, v130, v131                         // 000000004A98: D2680081 00030782
	v_cvt_pk_bf16_f32 v130, v132, v133                         // 000000004AA0: D2680082 00030B84
	v_cvt_pk_bf16_f32 v131, v134, v135                         // 000000004AA8: D2680083 00030F86
	v_cvt_pk_bf16_f32 v132, v136, v137                         // 000000004AB0: D2680084 00031388
	v_cvt_pk_bf16_f32 v133, v138, v139                         // 000000004AB8: D2680085 0003178A
	v_cvt_pk_bf16_f32 v134, v140, v141                         // 000000004AC0: D2680086 00031B8C
	v_cvt_pk_bf16_f32 v135, v142, v143                         // 000000004AC8: D2680087 00031F8E
	v_cvt_pk_bf16_f32 v136, v144, v145                         // 000000004AD0: D2680088 00032390
	v_cvt_pk_bf16_f32 v137, v146, v147                         // 000000004AD8: D2680089 00032792
	v_cvt_pk_bf16_f32 v138, v148, v149                         // 000000004AE0: D268008A 00032B94
	v_cvt_pk_bf16_f32 v139, v150, v151                         // 000000004AE8: D268008B 00032F96
	v_cvt_pk_bf16_f32 v140, v152, v153                         // 000000004AF0: D268008C 00033398
	v_cvt_pk_bf16_f32 v141, v154, v155                         // 000000004AF8: D268008D 0003379A
	v_cvt_pk_bf16_f32 v142, v156, v157                         // 000000004B00: D268008E 00033B9C
	v_cvt_pk_bf16_f32 v143, v158, v159                         // 000000004B08: D268008F 00033F9E
	s_cmp_ge_u32 s80, 0x200                                    // 000000004B10: BF09FF50 00000200
	s_cselect_b32 s59, 0x200, s59                              // 000000004B18: 853B3BFF 00000200
	s_setvskip s20, 0                                          // 000000004B20: BF108014
	global_atomic_pk_add_bf16 v80, v64, s[8:9]                 // 000000004B24: DD488000 00084050
	s_setvskip 0, 0                                            // 000000004B2C: BF108080
	s_setvskip s20, 0                                          // 000000004B30: BF108014
	global_atomic_pk_add_bf16 v80, v65, s[8:9] offset:256      // 000000004B34: DD488100 00084150
	s_setvskip 0, 0                                            // 000000004B3C: BF108080
	s_setvskip s20, 1                                          // 000000004B40: BF108114
	global_atomic_pk_add_bf16 v82, v66, s[8:9]                 // 000000004B44: DD488000 00084252
	s_setvskip 0, 0                                            // 000000004B4C: BF108080
	s_setvskip s20, 1                                          // 000000004B50: BF108114
	global_atomic_pk_add_bf16 v82, v67, s[8:9] offset:256      // 000000004B54: DD488100 00084352
	s_setvskip 0, 0                                            // 000000004B5C: BF108080
	s_setvskip s20, 2                                          // 000000004B60: BF108214
	global_atomic_pk_add_bf16 v84, v68, s[8:9]                 // 000000004B64: DD488000 00084454
	s_setvskip 0, 0                                            // 000000004B6C: BF108080
	s_setvskip s20, 2                                          // 000000004B70: BF108214
	global_atomic_pk_add_bf16 v84, v69, s[8:9] offset:256      // 000000004B74: DD488100 00084554
	s_setvskip 0, 0                                            // 000000004B7C: BF108080
	s_setvskip s20, 3                                          // 000000004B80: BF108314
	global_atomic_pk_add_bf16 v86, v70, s[8:9]                 // 000000004B84: DD488000 00084656
	s_setvskip 0, 0                                            // 000000004B8C: BF108080
	s_setvskip s20, 3                                          // 000000004B90: BF108314
	global_atomic_pk_add_bf16 v86, v71, s[8:9] offset:256      // 000000004B94: DD488100 00084756
	s_setvskip 0, 0                                            // 000000004B9C: BF108080
	s_setvskip s20, 4                                          // 000000004BA0: BF108414
	global_atomic_pk_add_bf16 v88, v72, s[8:9]                 // 000000004BA4: DD488000 00084858
	s_setvskip 0, 0                                            // 000000004BAC: BF108080
	s_setvskip s20, 4                                          // 000000004BB0: BF108414
	global_atomic_pk_add_bf16 v88, v73, s[8:9] offset:256      // 000000004BB4: DD488100 00084958
	s_setvskip 0, 0                                            // 000000004BBC: BF108080
	s_setvskip s20, 5                                          // 000000004BC0: BF108514
	global_atomic_pk_add_bf16 v90, v74, s[8:9]                 // 000000004BC4: DD488000 00084A5A
	s_setvskip 0, 0                                            // 000000004BCC: BF108080
	s_setvskip s20, 5                                          // 000000004BD0: BF108514
	global_atomic_pk_add_bf16 v90, v75, s[8:9] offset:256      // 000000004BD4: DD488100 00084B5A
	s_setvskip 0, 0                                            // 000000004BDC: BF108080
	s_setvskip s20, 6                                          // 000000004BE0: BF108614
	global_atomic_pk_add_bf16 v92, v76, s[8:9]                 // 000000004BE4: DD488000 00084C5C
	s_setvskip 0, 0                                            // 000000004BEC: BF108080
	s_setvskip s20, 6                                          // 000000004BF0: BF108614
	global_atomic_pk_add_bf16 v92, v77, s[8:9] offset:256      // 000000004BF4: DD488100 00084D5C
	s_setvskip 0, 0                                            // 000000004BFC: BF108080
	s_setvskip s20, 7                                          // 000000004C00: BF108714
	global_atomic_pk_add_bf16 v94, v78, s[8:9]                 // 000000004C04: DD488000 00084E5E
	s_setvskip 0, 0                                            // 000000004C0C: BF108080
	s_setvskip s20, 7                                          // 000000004C10: BF108714
	global_atomic_pk_add_bf16 v94, v79, s[8:9] offset:256      // 000000004C14: DD488100 00084F5E
	s_setvskip 0, 0                                            // 000000004C1C: BF108080
	s_add_u32 s8, s59, s8                                      // 000000004C20: 8008083B
	s_addc_u32 s9, 0, s9                                       // 000000004C24: 82090980
	s_addk_i32 s80, 0x100                                      // 000000004C28: B7500100
	s_cmp_lt_i32 s80, s81                                      // 000000004C2C: BF045150
	s_cbranch_scc0 label_08A6                                  // 000000004C30: BF840119
	s_waitcnt vmcnt(4) lgkmcnt(0)                              // 000000004C34: BF8C0074
	s_barrier                                                  // 000000004C38: BF8A0000
	v_mfma_f32_16x16x128_f8f6f4 v[160:163], a[32:39], v[96:103], 0// 000000004C3C: D3AD00A0 0A02C120
	ds_read_b32 v64, v5 offset:38400                           // 000000004C44: D86C9600 40000005
	ds_read_b32 v65, v5 offset:42752                           // 000000004C4C: D86CA700 41000005
	ds_read_b32 v66, v5 offset:38408                           // 000000004C54: D86C9608 42000005
	ds_read_b32 v67, v5 offset:42760                           // 000000004C5C: D86CA708 43000005
	v_mfma_f32_16x16x128_f8f6f4 v[164:167], a[32:39], v[104:111], 0// 000000004C64: D3AD00A4 0A02D120
	buffer_load_dwordx4 a[0:3], v36, s[12:15], 0 offen         // 000000004C6C: E05C1000 80830024
	buffer_load_dwordx4 a[4:7], v36, s[12:15], 0 offen offset:1024// 000000004C74: E05C1400 80830424
	v_mfma_f32_16x16x128_f8f6f4 v[168:171], a[40:47], v[96:103], 0// 000000004C7C: D3AD00A8 0A02C128
	ds_read_b32 v68, v5 offset:38432                           // 000000004C84: D86C9620 44000005
	ds_read_b32 v69, v5 offset:42784                           // 000000004C8C: D86CA720 45000005
	ds_read_b32 v70, v5 offset:38440                           // 000000004C94: D86C9628 46000005
	ds_read_b32 v71, v5 offset:42792                           // 000000004C9C: D86CA728 47000005
	v_mfma_f32_16x16x128_f8f6f4 v[172:175], a[40:47], v[104:111], 0// 000000004CA4: D3AD00AC 0A02D128
	buffer_load_dwordx4 a[8:11], v37, s[12:15], 0 offen        // 000000004CAC: E05C1000 80830825
	buffer_load_dwordx4 a[12:15], v37, s[12:15], 0 offen offset:1024// 000000004CB4: E05C1400 80830C25
	buffer_load_dword v23, v6, s[16:19], 0 offen               // 000000004CBC: E0501000 80041706
	s_waitcnt vmcnt(5)                                         // 000000004CC4: BF8C0F75
	v_mfma_f32_16x16x128_f8f6f4 v[176:179], a[48:55], v[96:103], 0// 000000004CC8: D3AD00B0 0A02C130
	ds_read_b32 v72, v5 offset:47104                           // 000000004CD0: D86CB800 48000005
	ds_read_b32 v73, v5 offset:51456                           // 000000004CD8: D86CC900 49000005
	ds_read_b32 v74, v5 offset:47112                           // 000000004CE0: D86CB808 4A000005
	ds_read_b32 v75, v5 offset:51464                           // 000000004CE8: D86CC908 4B000005
	ds_write_b64 v4, v[128:129] offset:20992                   // 000000004CF0: D89A5200 00008004
	ds_write_b64 v4, v[130:131] offset:29696                   // 000000004CF8: D89A7400 00008204
	ds_write_b64 v4, v[132:133] offset:23168                   // 000000004D00: D89A5A80 00008404
	ds_write_b64 v4, v[134:135] offset:31872                   // 000000004D08: D89A7C80 00008604
	v_mfma_f32_16x16x128_f8f6f4 v[180:183], a[48:55], v[104:111], 0// 000000004D10: D3AD00B4 0A02D130
	buffer_load_dwordx4 a[16:19], v38, s[12:15], 0 offen       // 000000004D18: E05C1000 80831026
	buffer_load_dwordx4 a[20:23], v38, s[12:15], 0 offen offset:1024// 000000004D20: E05C1400 80831426
	v_mfma_f32_16x16x128_f8f6f4 v[184:187], a[56:63], v[96:103], 0// 000000004D28: D3AD00B8 0A02C138
	ds_read_b32 v76, v5 offset:47136                           // 000000004D30: D86CB820 4C000005
	ds_read_b32 v77, v5 offset:51488                           // 000000004D38: D86CC920 4D000005
	ds_read_b32 v78, v5 offset:47144                           // 000000004D40: D86CB828 4E000005
	ds_read_b32 v79, v5 offset:51496                           // 000000004D48: D86CC928 4F000005
	ds_write_b64 v4, v[136:137] offset:25344                   // 000000004D50: D89A6300 00008804
	ds_write_b64 v4, v[138:139] offset:34048                   // 000000004D58: D89A8500 00008A04
	ds_write_b64 v4, v[140:141] offset:27520                   // 000000004D60: D89A6B80 00008C04
	ds_write_b64 v4, v[142:143] offset:36224                   // 000000004D68: D89A8D80 00008E04
	v_mfma_f32_16x16x128_f8f6f4 v[188:191], a[56:63], v[104:111], 0// 000000004D70: D3AD00BC 0A02D138
	buffer_load_dwordx4 a[24:27], v39, s[12:15], 0 offen       // 000000004D78: E05C1000 80831827
	buffer_load_dwordx4 a[28:31], v39, s[12:15], 0 offen offset:1024// 000000004D80: E05C1400 80831C27
	v_mul_f32_dpp v44, v24, v30 row_newbcast:0 row_mask:0xf bank_mask:0xf// 000000004D88: 0A583CFA FF015018
	v_mov_b32_e32 v45, v44                                     // 000000004D90: 7E5A032C
	v_pk_mul_f32 v[160:161], v[44:45], v[160:161]              // 000000004D94: D3B140A0 1803412C
	v_pk_mul_f32 v[162:163], v[44:45], v[162:163]              // 000000004D9C: D3B140A2 1803452C
	v_pk_mul_f32 v[168:169], v[44:45], v[168:169]              // 000000004DA4: D3B140A8 1803512C
	v_pk_mul_f32 v[170:171], v[44:45], v[170:171]              // 000000004DAC: D3B140AA 1803552C
	v_mul_f32_dpp v44, v24, v30 row_newbcast:1 row_mask:0xf bank_mask:0xf// 000000004DB4: 0A583CFA FF015118
	v_mov_b32_e32 v45, v44                                     // 000000004DBC: 7E5A032C
	v_pk_mul_f32 v[176:177], v[44:45], v[176:177]              // 000000004DC0: D3B140B0 1803612C
	v_pk_mul_f32 v[178:179], v[44:45], v[178:179]              // 000000004DC8: D3B140B2 1803652C
	v_pk_mul_f32 v[184:185], v[44:45], v[184:185]              // 000000004DD0: D3B140B8 1803712C
	v_pk_mul_f32 v[186:187], v[44:45], v[186:187]              // 000000004DD8: D3B140BA 1803752C
	v_mul_f32_dpp v44, v24, v31 row_newbcast:0 row_mask:0xf bank_mask:0xf// 000000004DE0: 0A583EFA FF015018
	v_mov_b32_e32 v45, v44                                     // 000000004DE8: 7E5A032C
	v_pk_mul_f32 v[164:165], v[44:45], v[164:165]              // 000000004DEC: D3B140A4 1803492C
	v_pk_mul_f32 v[166:167], v[44:45], v[166:167]              // 000000004DF4: D3B140A6 18034D2C
	v_pk_mul_f32 v[172:173], v[44:45], v[172:173]              // 000000004DFC: D3B140AC 1803592C
	v_pk_mul_f32 v[174:175], v[44:45], v[174:175]              // 000000004E04: D3B140AE 18035D2C
	v_mul_f32_dpp v44, v24, v31 row_newbcast:1 row_mask:0xf bank_mask:0xf// 000000004E0C: 0A583EFA FF015118
	v_mov_b32_e32 v45, v44                                     // 000000004E14: 7E5A032C
	v_pk_mul_f32 v[180:181], v[44:45], v[180:181]              // 000000004E18: D3B140B4 1803692C
	v_pk_mul_f32 v[182:183], v[44:45], v[182:183]              // 000000004E20: D3B140B6 18036D2C
	v_pk_mul_f32 v[188:189], v[44:45], v[188:189]              // 000000004E28: D3B140BC 1803792C
	v_pk_mul_f32 v[190:191], v[44:45], v[190:191]              // 000000004E30: D3B140BE 18037D2C
	s_add_u32 s60, 0x200, s80                                  // 000000004E38: 803C50FF 00000200
	s_cmp_lt_u32 s60, s81                                      // 000000004E40: BF0A513C
	s_cselect_b32 s56, s56, 0                                  // 000000004E44: 85388038
	s_cselect_b32 s78, s78, 0                                  // 000000004E48: 854E804E
	s_cselect_b32 s79, s79, 0                                  // 000000004E4C: 854F804F
	s_add_u32 s12, s56, s12                                    // 000000004E50: 800C0C38
	s_addc_u32 s13, 0, s13                                     // 000000004E54: 820D0D80
	s_add_u32 s16, s79, s16                                    // 000000004E58: 8010104F
	s_addc_u32 s17, 0, s17                                     // 000000004E5C: 82111180
	v_mov_b32_e32 v44, v25                                     // 000000004E60: 7E580319
	v_mov_b32_e32 v45, v25                                     // 000000004E64: 7E5A0319
	v_pk_mul_f32 v[160:161], v[44:45], v[160:161]              // 000000004E68: D3B140A0 1803412C
	v_pk_mul_f32 v[162:163], v[44:45], v[162:163]              // 000000004E70: D3B140A2 1803452C
	v_pk_mul_f32 v[168:169], v[44:45], v[168:169]              // 000000004E78: D3B140A8 1803512C
	v_pk_mul_f32 v[170:171], v[44:45], v[170:171]              // 000000004E80: D3B140AA 1803552C
	v_pk_mul_f32 v[176:177], v[44:45], v[176:177]              // 000000004E88: D3B140B0 1803612C
	v_pk_mul_f32 v[178:179], v[44:45], v[178:179]              // 000000004E90: D3B140B2 1803652C
	v_pk_mul_f32 v[184:185], v[44:45], v[184:185]              // 000000004E98: D3B140B8 1803712C
	v_pk_mul_f32 v[186:187], v[44:45], v[186:187]              // 000000004EA0: D3B140BA 1803752C
	v_mov_b32_e32 v44, v26                                     // 000000004EA8: 7E58031A
	v_mov_b32_e32 v45, v26                                     // 000000004EAC: 7E5A031A
	v_pk_mul_f32 v[164:165], v[44:45], v[164:165]              // 000000004EB0: D3B140A4 1803492C
	v_pk_mul_f32 v[166:167], v[44:45], v[166:167]              // 000000004EB8: D3B140A6 18034D2C
	v_pk_mul_f32 v[172:173], v[44:45], v[172:173]              // 000000004EC0: D3B140AC 1803592C
	v_pk_mul_f32 v[174:175], v[44:45], v[174:175]              // 000000004EC8: D3B140AE 18035D2C
	v_pk_mul_f32 v[180:181], v[44:45], v[180:181]              // 000000004ED0: D3B140B4 1803692C
	v_pk_mul_f32 v[182:183], v[44:45], v[182:183]              // 000000004ED8: D3B140B6 18036D2C
	v_pk_mul_f32 v[188:189], v[44:45], v[188:189]              // 000000004EE0: D3B140BC 1803792C
	v_pk_mul_f32 v[190:191], v[44:45], v[190:191]              // 000000004EE8: D3B140BE 18037D2C
	v_cvt_pk_bf16_f32 v160, v160, v161                         // 000000004EF0: D26800A0 000343A0
	v_cvt_pk_bf16_f32 v161, v162, v163                         // 000000004EF8: D26800A1 000347A2
	v_cvt_pk_bf16_f32 v162, v164, v165                         // 000000004F00: D26800A2 00034BA4
	v_cvt_pk_bf16_f32 v163, v166, v167                         // 000000004F08: D26800A3 00034FA6
	v_cvt_pk_bf16_f32 v164, v168, v169                         // 000000004F10: D26800A4 000353A8
	v_cvt_pk_bf16_f32 v165, v170, v171                         // 000000004F18: D26800A5 000357AA
	v_cvt_pk_bf16_f32 v166, v172, v173                         // 000000004F20: D26800A6 00035BAC
	v_cvt_pk_bf16_f32 v167, v174, v175                         // 000000004F28: D26800A7 00035FAE
	v_cvt_pk_bf16_f32 v168, v176, v177                         // 000000004F30: D26800A8 000363B0
	v_cvt_pk_bf16_f32 v169, v178, v179                         // 000000004F38: D26800A9 000367B2
	v_cvt_pk_bf16_f32 v170, v180, v181                         // 000000004F40: D26800AA 00036BB4
	v_cvt_pk_bf16_f32 v171, v182, v183                         // 000000004F48: D26800AB 00036FB6
	v_cvt_pk_bf16_f32 v172, v184, v185                         // 000000004F50: D26800AC 000373B8
	v_cvt_pk_bf16_f32 v173, v186, v187                         // 000000004F58: D26800AD 000377BA
	v_cvt_pk_bf16_f32 v174, v188, v189                         // 000000004F60: D26800AE 00037BBC
	v_cvt_pk_bf16_f32 v175, v190, v191                         // 000000004F68: D26800AF 00037FBE
	s_cmp_ge_u32 s80, 0x200                                    // 000000004F70: BF09FF50 00000200
	s_cselect_b32 s59, 0x200, s59                              // 000000004F78: 853B3BFF 00000200
	s_setvskip s20, 0                                          // 000000004F80: BF108014
	global_atomic_pk_add_bf16 v80, v64, s[8:9]                 // 000000004F84: DD488000 00084050
	s_setvskip 0, 0                                            // 000000004F8C: BF108080
	s_setvskip s20, 0                                          // 000000004F90: BF108014
	global_atomic_pk_add_bf16 v80, v65, s[8:9] offset:256      // 000000004F94: DD488100 00084150
	s_setvskip 0, 0                                            // 000000004F9C: BF108080
	s_setvskip s20, 1                                          // 000000004FA0: BF108114
	global_atomic_pk_add_bf16 v82, v66, s[8:9]                 // 000000004FA4: DD488000 00084252
	s_setvskip 0, 0                                            // 000000004FAC: BF108080
	s_setvskip s20, 1                                          // 000000004FB0: BF108114
	global_atomic_pk_add_bf16 v82, v67, s[8:9] offset:256      // 000000004FB4: DD488100 00084352
	s_setvskip 0, 0                                            // 000000004FBC: BF108080
	s_setvskip s20, 2                                          // 000000004FC0: BF108214
	global_atomic_pk_add_bf16 v84, v68, s[8:9]                 // 000000004FC4: DD488000 00084454
	s_setvskip 0, 0                                            // 000000004FCC: BF108080
	s_setvskip s20, 2                                          // 000000004FD0: BF108214
	global_atomic_pk_add_bf16 v84, v69, s[8:9] offset:256      // 000000004FD4: DD488100 00084554
	s_setvskip 0, 0                                            // 000000004FDC: BF108080
	s_setvskip s20, 3                                          // 000000004FE0: BF108314
	global_atomic_pk_add_bf16 v86, v70, s[8:9]                 // 000000004FE4: DD488000 00084656
	s_setvskip 0, 0                                            // 000000004FEC: BF108080
	s_setvskip s20, 3                                          // 000000004FF0: BF108314
	global_atomic_pk_add_bf16 v86, v71, s[8:9] offset:256      // 000000004FF4: DD488100 00084756
	s_setvskip 0, 0                                            // 000000004FFC: BF108080
	s_setvskip s20, 4                                          // 000000005000: BF108414
	global_atomic_pk_add_bf16 v88, v72, s[8:9]                 // 000000005004: DD488000 00084858
	s_setvskip 0, 0                                            // 00000000500C: BF108080
	s_setvskip s20, 4                                          // 000000005010: BF108414
	global_atomic_pk_add_bf16 v88, v73, s[8:9] offset:256      // 000000005014: DD488100 00084958
	s_setvskip 0, 0                                            // 00000000501C: BF108080
	s_setvskip s20, 5                                          // 000000005020: BF108514
	global_atomic_pk_add_bf16 v90, v74, s[8:9]                 // 000000005024: DD488000 00084A5A
	s_setvskip 0, 0                                            // 00000000502C: BF108080
	s_setvskip s20, 5                                          // 000000005030: BF108514
	global_atomic_pk_add_bf16 v90, v75, s[8:9] offset:256      // 000000005034: DD488100 00084B5A
	s_setvskip 0, 0                                            // 00000000503C: BF108080
	s_setvskip s20, 6                                          // 000000005040: BF108614
	global_atomic_pk_add_bf16 v92, v76, s[8:9]                 // 000000005044: DD488000 00084C5C
	s_setvskip 0, 0                                            // 00000000504C: BF108080
	s_setvskip s20, 6                                          // 000000005050: BF108614
	global_atomic_pk_add_bf16 v92, v77, s[8:9] offset:256      // 000000005054: DD488100 00084D5C
	s_setvskip 0, 0                                            // 00000000505C: BF108080
	s_setvskip s20, 7                                          // 000000005060: BF108714
	global_atomic_pk_add_bf16 v94, v78, s[8:9]                 // 000000005064: DD488000 00084E5E
	s_setvskip 0, 0                                            // 00000000506C: BF108080
	s_setvskip s20, 7                                          // 000000005070: BF108714
	global_atomic_pk_add_bf16 v94, v79, s[8:9] offset:256      // 000000005074: DD488100 00084F5E
	s_setvskip 0, 0                                            // 00000000507C: BF108080
	s_add_u32 s8, s59, s8                                      // 000000005080: 8008083B
	s_addc_u32 s9, 0, s9                                       // 000000005084: 82090980
	s_addk_i32 s80, 0x100                                      // 000000005088: B7500100
	s_cmp_lt_i32 s80, s81                                      // 00000000508C: BF045150
	s_cbranch_scc0 label_08A6                                  // 000000005090: BF840001
	s_branch label_0675                                        // 000000005094: BF82FDCF

0000000000005098 <label_08A6>:
	s_nop 0                                                    // 000000005098: BF800000
	s_nop 0                                                    // 00000000509C: BF800000
	s_branch label_0E8D                                        // 0000000050A0: BF8205E4

00000000000050a4 <label_08A9>:
	s_waitcnt vmcnt(4) lgkmcnt(0)                              // 0000000050A4: BF8C0074
	s_barrier                                                  // 0000000050A8: BF8A0000
	v_mfma_f32_16x16x128_f8f6f4 v[112:115], a[0:7], v[128:135], 0// 0000000050AC: D3AD0070 0A030100
	buffer_load_dwordx4 v32, s[20:23], 0 offen lds             // 0000000050B4: E05D1000 80050020
	s_add_u32 m0, 0x1080, s51                                  // 0000000050BC: 807C33FF 00001080
	buffer_load_dwordx4 v33, s[20:23], 0 offen lds             // 0000000050C4: E05D1000 80050021
	s_add_u32 m0, m0, s76                                      // 0000000050CC: 807C4C7C
	buffer_load_dwordx4 a[32:35], v34, s[92:95], 0 offen       // 0000000050D0: E05C1000 80972022
	buffer_load_dwordx4 a[36:39], v34, s[92:95], 0 offen offset:1024// 0000000050D8: E05C1400 80972422
	v_mfma_f32_16x16x128_f8f6f4 v[116:119], a[0:7], v[144:151], 0// 0000000050E0: D3AD0074 0A032100
	v_mfma_f32_16x16x128_f8f6f4 v[120:123], a[8:15], v[128:135], 0// 0000000050E8: D3AD0078 0A030108
	buffer_load_dwordx4 a[40:43], v35, s[92:95], 0 offen       // 0000000050F0: E05C1000 80972823
	buffer_load_dwordx4 a[44:47], v35, s[92:95], 0 offen offset:1024// 0000000050F8: E05C1400 80972C23
	buffer_load_dword v7, s[28:31], 0 offen lds                // 000000005100: E0511000 80070007
	s_add_u32 m0, 0, s50                                       // 000000005108: 807C3280
	buffer_load_dword v24, v13, s[32:35], 0 offen              // 00000000510C: E0501000 8008180D
	v_mfma_f32_16x16x128_f8f6f4 v[124:127], a[8:15], v[144:151], 0// 000000005114: D3AD007C 0A032108
	v_mul_f32_dpp v44, v23, v15 row_newbcast:0 row_mask:0xf bank_mask:0xf// 00000000511C: 0A581EFA FF015017
	v_mov_b32_e32 v45, v44                                     // 000000005124: 7E5A032C
	v_pk_fma_f32 v[96:97], v[112:113], v[44:45], v[96:97]      // 000000005128: D3B04060 1D825970
	v_pk_fma_f32 v[98:99], v[114:115], v[44:45], v[98:99]      // 000000005130: D3B04062 1D8A5972
	v_pk_fma_f32 v[104:105], v[120:121], v[44:45], v[104:105]  // 000000005138: D3B04068 1DA25978
	v_pk_fma_f32 v[106:107], v[122:123], v[44:45], v[106:107]  // 000000005140: D3B0406A 1DAA597A
	v_mul_f32_dpp v44, v23, v16 row_newbcast:0 row_mask:0xf bank_mask:0xf// 000000005148: 0A5820FA FF015017
	v_mov_b32_e32 v45, v44                                     // 000000005150: 7E5A032C
	v_pk_fma_f32 v[100:101], v[116:117], v[44:45], v[100:101]  // 000000005154: D3B04064 1D925974
	v_pk_fma_f32 v[102:103], v[118:119], v[44:45], v[102:103]  // 00000000515C: D3B04066 1D9A5976
	v_pk_fma_f32 v[108:109], v[124:125], v[44:45], v[108:109]  // 000000005164: D3B0406C 1DB2597C
	v_pk_fma_f32 v[110:111], v[126:127], v[44:45], v[110:111]  // 00000000516C: D3B0406E 1DBA597E
	s_waitcnt vmcnt(8)                                         // 000000005174: BF8C0F78
	v_mfma_f32_16x16x128_f8f6f4 v[112:115], a[16:23], v[136:143], 0// 000000005178: D3AD0070 0A031110
	buffer_load_dwordx4 a[48:51], v34, s[92:95], 0 offen offset:2048// 000000005180: E05C1800 80973022
	buffer_load_dwordx4 a[52:55], v34, s[92:95], 0 offen offset:3072// 000000005188: E05C1C00 80973422
	v_mfma_f32_16x16x128_f8f6f4 v[116:119], a[16:23], v[152:159], 0// 000000005190: D3AD0074 0A033110
	v_mfma_f32_16x16x128_f8f6f4 v[120:123], a[24:31], v[136:143], 0// 000000005198: D3AD0078 0A031118
	buffer_load_dwordx4 a[56:59], v35, s[92:95], 0 offen offset:2048// 0000000051A0: E05C1800 80973823
	buffer_load_dwordx4 a[60:63], v35, s[92:95], 0 offen offset:3072// 0000000051A8: E05C1C00 80973C23
	v_mfma_f32_16x16x128_f8f6f4 v[124:127], a[24:31], v[152:159], 0// 0000000051B0: D3AD007C 0A033118
	v_mul_f32_dpp v44, v23, v17 row_newbcast:2 row_mask:0xf bank_mask:0xf// 0000000051B8: 0A5822FA FF015217
	v_mov_b32_e32 v45, v44                                     // 0000000051C0: 7E5A032C
	v_pk_fma_f32 v[96:97], v[112:113], v[44:45], v[96:97]      // 0000000051C4: D3B04060 1D825970
	v_pk_fma_f32 v[98:99], v[114:115], v[44:45], v[98:99]      // 0000000051CC: D3B04062 1D8A5972
	v_pk_fma_f32 v[104:105], v[120:121], v[44:45], v[104:105]  // 0000000051D4: D3B04068 1DA25978
	v_pk_fma_f32 v[106:107], v[122:123], v[44:45], v[106:107]  // 0000000051DC: D3B0406A 1DAA597A
	v_mul_f32_dpp v44, v23, v18 row_newbcast:2 row_mask:0xf bank_mask:0xf// 0000000051E4: 0A5824FA FF015217
	v_mov_b32_e32 v45, v44                                     // 0000000051EC: 7E5A032C
	v_pk_fma_f32 v[100:101], v[116:117], v[44:45], v[100:101]  // 0000000051F0: D3B04064 1D925974
	v_pk_fma_f32 v[102:103], v[118:119], v[44:45], v[102:103]  // 0000000051F8: D3B04066 1D9A5976
	v_pk_fma_f32 v[108:109], v[124:125], v[44:45], v[108:109]  // 000000005200: D3B0406C 1DB2597C
	v_pk_fma_f32 v[110:111], v[126:127], v[44:45], v[110:111]  // 000000005208: D3B0406E 1DBA597E
	s_add_u32 s60, 0x100, s80                                  // 000000005210: 803C50FF 00000100
	s_cmp_lt_u32 s60, s81                                      // 000000005218: BF0A513C
	s_cselect_b32 s4, s4, 0                                    // 00000000521C: 85048004
	s_add_u32 s32, s4, s32                                     // 000000005220: 80202004
	s_addc_u32 s33, 0, s33                                     // 000000005224: 82212180
	s_waitcnt vmcnt(4)                                         // 000000005228: BF8C0F74
	s_barrier                                                  // 00000000522C: BF8A0000
	v_mfma_f32_16x16x128_f8f6f4 v[112:115], a[32:39], v[128:135], 0// 000000005230: D3AD0070 0A030120
	buffer_load_dwordx4 a[0:3], v34, s[24:27], 0 offen         // 000000005238: E05C1000 80860022
	buffer_load_dwordx4 a[4:7], v34, s[24:27], 0 offen offset:1024// 000000005240: E05C1400 80860422
	buffer_load_dword v23, v11, s[32:35], 0 offen              // 000000005248: E0501000 8008170B
	v_mfma_f32_16x16x128_f8f6f4 v[116:119], a[32:39], v[144:151], 0// 000000005250: D3AD0074 0A032120
	v_mfma_f32_16x16x128_f8f6f4 v[120:123], a[40:47], v[128:135], 0// 000000005258: D3AD0078 0A030128
	buffer_load_dwordx4 a[8:11], v35, s[24:27], 0 offen        // 000000005260: E05C1000 80860823
	buffer_load_dwordx4 a[12:15], v35, s[24:27], 0 offen offset:1024// 000000005268: E05C1400 80860C23
	v_mfma_f32_16x16x128_f8f6f4 v[124:127], a[40:47], v[144:151], 0// 000000005270: D3AD007C 0A032128
	v_mul_f32_dpp v44, v24, v15 row_newbcast:0 row_mask:0xf bank_mask:0xf// 000000005278: 0A581EFA FF015018
	v_mov_b32_e32 v45, v44                                     // 000000005280: 7E5A032C
	v_pk_fma_f32 v[64:65], v[112:113], v[44:45], v[64:65]      // 000000005284: D3B04040 1D025970
	v_pk_fma_f32 v[66:67], v[114:115], v[44:45], v[66:67]      // 00000000528C: D3B04042 1D0A5972
	v_pk_fma_f32 v[72:73], v[120:121], v[44:45], v[72:73]      // 000000005294: D3B04048 1D225978
	v_pk_fma_f32 v[74:75], v[122:123], v[44:45], v[74:75]      // 00000000529C: D3B0404A 1D2A597A
	v_mul_f32_dpp v44, v24, v16 row_newbcast:0 row_mask:0xf bank_mask:0xf// 0000000052A4: 0A5820FA FF015018
	v_mov_b32_e32 v45, v44                                     // 0000000052AC: 7E5A032C
	v_pk_fma_f32 v[68:69], v[116:117], v[44:45], v[68:69]      // 0000000052B0: D3B04044 1D125974
	v_pk_fma_f32 v[70:71], v[118:119], v[44:45], v[70:71]      // 0000000052B8: D3B04046 1D1A5976
	v_pk_fma_f32 v[76:77], v[124:125], v[44:45], v[76:77]      // 0000000052C0: D3B0404C 1D32597C
	v_pk_fma_f32 v[78:79], v[126:127], v[44:45], v[78:79]      // 0000000052C8: D3B0404E 1D3A597E
	s_waitcnt vmcnt(5)                                         // 0000000052D0: BF8C0F75
	v_mfma_f32_16x16x128_f8f6f4 v[112:115], a[48:55], v[136:143], 0// 0000000052D4: D3AD0070 0A031130
	buffer_load_dwordx4 a[16:19], v34, s[24:27], 0 offen offset:2048// 0000000052DC: E05C1800 80861022
	buffer_load_dwordx4 a[20:23], v34, s[24:27], 0 offen offset:3072// 0000000052E4: E05C1C00 80861422
	v_mfma_f32_16x16x128_f8f6f4 v[116:119], a[48:55], v[152:159], 0// 0000000052EC: D3AD0074 0A033130
	s_waitcnt lgkmcnt(0)                                       // 0000000052F4: BF8CC07F
	s_barrier                                                  // 0000000052F8: BF8A0000
	ds_read_b128 v[160:163], v2 offset:9472                    // 0000000052FC: D9FE2500 A0000002
	ds_read_b128 v[164:167], v2 offset:9536                    // 000000005304: D9FE2540 A4000002
	ds_read_b128 v[168:171], v2 offset:13696                   // 00000000530C: D9FE3580 A8000002
	ds_read_b128 v[172:175], v2 offset:13760                   // 000000005314: D9FE35C0 AC000002
	ds_read_b32 v19, v3 offset:17920                           // 00000000531C: D86C4600 13000003
	ds_read_b32 v20, v3 offset:18176                           // 000000005324: D86C4700 14000003
	v_mfma_f32_16x16x128_f8f6f4 v[120:123], a[56:63], v[136:143], 0// 00000000532C: D3AD0078 0A031138
	buffer_load_dwordx4 a[24:27], v35, s[24:27], 0 offen offset:2048// 000000005334: E05C1800 80861823
	buffer_load_dwordx4 a[28:31], v35, s[24:27], 0 offen offset:3072// 00000000533C: E05C1C00 80861C23
	v_mfma_f32_16x16x128_f8f6f4 v[124:127], a[56:63], v[152:159], 0// 000000005344: D3AD007C 0A033138
	ds_read_b128 v[176:179], v2 offset:9984                    // 00000000534C: D9FE2700 B0000002
	ds_read_b128 v[180:183], v2 offset:10048                   // 000000005354: D9FE2740 B4000002
	ds_read_b128 v[184:187], v2 offset:14208                   // 00000000535C: D9FE3780 B8000002
	ds_read_b128 v[188:191], v2 offset:14272                   // 000000005364: D9FE37C0 BC000002
	ds_read_b32 v21, v3 offset:18432                           // 00000000536C: D86C4800 15000003
	ds_read_b32 v22, v3 offset:18688                           // 000000005374: D86C4900 16000003
	v_mul_f32_dpp v44, v24, v17 row_newbcast:2 row_mask:0xf bank_mask:0xf// 00000000537C: 0A5822FA FF015218
	v_mov_b32_e32 v45, v44                                     // 000000005384: 7E5A032C
	v_pk_fma_f32 v[64:65], v[112:113], v[44:45], v[64:65]      // 000000005388: D3B04040 1D025970
	v_pk_fma_f32 v[66:67], v[114:115], v[44:45], v[66:67]      // 000000005390: D3B04042 1D0A5972
	v_pk_fma_f32 v[72:73], v[120:121], v[44:45], v[72:73]      // 000000005398: D3B04048 1D225978
	v_pk_fma_f32 v[74:75], v[122:123], v[44:45], v[74:75]      // 0000000053A0: D3B0404A 1D2A597A
	v_mul_f32_dpp v44, v24, v18 row_newbcast:2 row_mask:0xf bank_mask:0xf// 0000000053A8: 0A5824FA FF015218
	v_mov_b32_e32 v45, v44                                     // 0000000053B0: 7E5A032C
	v_pk_fma_f32 v[68:69], v[116:117], v[44:45], v[68:69]      // 0000000053B4: D3B04044 1D125974
	v_pk_fma_f32 v[70:71], v[118:119], v[44:45], v[70:71]      // 0000000053BC: D3B04046 1D1A5976
	v_pk_fma_f32 v[76:77], v[124:125], v[44:45], v[76:77]      // 0000000053C4: D3B0404C 1D32597C
	v_pk_fma_f32 v[78:79], v[126:127], v[44:45], v[78:79]      // 0000000053CC: D3B0404E 1D3A597E
	s_add_u32 s60, 0x200, s80                                  // 0000000053D4: 803C50FF 00000200
	s_cmp_lt_u32 s60, s81                                      // 0000000053DC: BF0A513C
	s_cselect_b32 s57, s57, 0                                  // 0000000053E0: 85398039
	s_cselect_b32 s3, s3, 0                                    // 0000000053E4: 85038003
	s_add_u32 s60, 0x200, s80                                  // 0000000053E8: 803C50FF 00000200
	s_cmp_lt_u32 s60, s81                                      // 0000000053F0: BF0A513C
	s_cselect_b32 s58, s58, 0                                  // 0000000053F4: 853A803A
	s_add_u32 s20, s57, s20                                    // 0000000053F8: 80141439
	s_addc_u32 s21, 0, s21                                     // 0000000053FC: 82151580
	s_add_u32 s28, s3, s28                                     // 000000005400: 801C1C03
	s_addc_u32 s29, 0, s29                                     // 000000005404: 821D1D80
	s_add_u32 s24, s58, s24                                    // 000000005408: 8018183A
	s_addc_u32 s25, 0, s25                                     // 00000000540C: 82191980
	s_add_u32 s92, s90, s92                                    // 000000005410: 805C5C5A
	s_addc_u32 s93, 0, s93                                     // 000000005414: 825D5D80
	s_addk_i32 s80, 0x100                                      // 000000005418: B7500100
	s_cmp_lt_i32 s80, s81                                      // 00000000541C: BF045150
	s_cbranch_scc0 label_0A6A                                  // 000000005420: BF8400E1
	s_waitcnt vmcnt(4) lgkmcnt(0)                              // 000000005424: BF8C0074
	s_barrier                                                  // 000000005428: BF8A0000
	v_mfma_f32_16x16x128_f8f6f4 v[112:115], a[0:7], v[160:167], 0// 00000000542C: D3AD0070 0A034100
	buffer_load_dwordx4 v32, s[20:23], 0 offen lds             // 000000005434: E05D1000 80050020
	s_add_u32 m0, 0x1080, s50                                  // 00000000543C: 807C32FF 00001080
	buffer_load_dwordx4 v33, s[20:23], 0 offen lds             // 000000005444: E05D1000 80050021
	s_add_u32 m0, m0, s76                                      // 00000000544C: 807C4C7C
	buffer_load_dwordx4 a[32:35], v34, s[92:95], 0 offen       // 000000005450: E05C1000 80972022
	buffer_load_dwordx4 a[36:39], v34, s[92:95], 0 offen offset:1024// 000000005458: E05C1400 80972422
	v_mfma_f32_16x16x128_f8f6f4 v[116:119], a[0:7], v[176:183], 0// 000000005460: D3AD0074 0A036100
	v_mfma_f32_16x16x128_f8f6f4 v[120:123], a[8:15], v[160:167], 0// 000000005468: D3AD0078 0A034108
	buffer_load_dwordx4 a[40:43], v35, s[92:95], 0 offen       // 000000005470: E05C1000 80972823
	buffer_load_dwordx4 a[44:47], v35, s[92:95], 0 offen offset:1024// 000000005478: E05C1400 80972C23
	buffer_load_dword v7, s[28:31], 0 offen lds                // 000000005480: E0511000 80070007
	s_add_u32 m0, 0, s51                                       // 000000005488: 807C3380
	buffer_load_dword v24, v13, s[32:35], 0 offen              // 00000000548C: E0501000 8008180D
	v_mfma_f32_16x16x128_f8f6f4 v[124:127], a[8:15], v[176:183], 0// 000000005494: D3AD007C 0A036108
	v_mul_f32_dpp v44, v23, v19 row_newbcast:0 row_mask:0xf bank_mask:0xf// 00000000549C: 0A5826FA FF015017
	v_mov_b32_e32 v45, v44                                     // 0000000054A4: 7E5A032C
	v_pk_fma_f32 v[96:97], v[112:113], v[44:45], v[96:97]      // 0000000054A8: D3B04060 1D825970
	v_pk_fma_f32 v[98:99], v[114:115], v[44:45], v[98:99]      // 0000000054B0: D3B04062 1D8A5972
	v_pk_fma_f32 v[104:105], v[120:121], v[44:45], v[104:105]  // 0000000054B8: D3B04068 1DA25978
	v_pk_fma_f32 v[106:107], v[122:123], v[44:45], v[106:107]  // 0000000054C0: D3B0406A 1DAA597A
	v_mul_f32_dpp v44, v23, v20 row_newbcast:0 row_mask:0xf bank_mask:0xf// 0000000054C8: 0A5828FA FF015017
	v_mov_b32_e32 v45, v44                                     // 0000000054D0: 7E5A032C
	v_pk_fma_f32 v[100:101], v[116:117], v[44:45], v[100:101]  // 0000000054D4: D3B04064 1D925974
	v_pk_fma_f32 v[102:103], v[118:119], v[44:45], v[102:103]  // 0000000054DC: D3B04066 1D9A5976
	v_pk_fma_f32 v[108:109], v[124:125], v[44:45], v[108:109]  // 0000000054E4: D3B0406C 1DB2597C
	v_pk_fma_f32 v[110:111], v[126:127], v[44:45], v[110:111]  // 0000000054EC: D3B0406E 1DBA597E
	s_waitcnt vmcnt(8)                                         // 0000000054F4: BF8C0F78
	v_mfma_f32_16x16x128_f8f6f4 v[112:115], a[16:23], v[168:175], 0// 0000000054F8: D3AD0070 0A035110
	buffer_load_dwordx4 a[48:51], v34, s[92:95], 0 offen offset:2048// 000000005500: E05C1800 80973022
	buffer_load_dwordx4 a[52:55], v34, s[92:95], 0 offen offset:3072// 000000005508: E05C1C00 80973422
	v_mfma_f32_16x16x128_f8f6f4 v[116:119], a[16:23], v[184:191], 0// 000000005510: D3AD0074 0A037110
	v_mfma_f32_16x16x128_f8f6f4 v[120:123], a[24:31], v[168:175], 0// 000000005518: D3AD0078 0A035118
	buffer_load_dwordx4 a[56:59], v35, s[92:95], 0 offen offset:2048// 000000005520: E05C1800 80973823
	buffer_load_dwordx4 a[60:63], v35, s[92:95], 0 offen offset:3072// 000000005528: E05C1C00 80973C23
	v_mfma_f32_16x16x128_f8f6f4 v[124:127], a[24:31], v[184:191], 0// 000000005530: D3AD007C 0A037118
	v_mul_f32_dpp v44, v23, v21 row_newbcast:2 row_mask:0xf bank_mask:0xf// 000000005538: 0A582AFA FF015217
	v_mov_b32_e32 v45, v44                                     // 000000005540: 7E5A032C
	v_pk_fma_f32 v[96:97], v[112:113], v[44:45], v[96:97]      // 000000005544: D3B04060 1D825970
	v_pk_fma_f32 v[98:99], v[114:115], v[44:45], v[98:99]      // 00000000554C: D3B04062 1D8A5972
	v_pk_fma_f32 v[104:105], v[120:121], v[44:45], v[104:105]  // 000000005554: D3B04068 1DA25978
	v_pk_fma_f32 v[106:107], v[122:123], v[44:45], v[106:107]  // 00000000555C: D3B0406A 1DAA597A
	v_mul_f32_dpp v44, v23, v22 row_newbcast:2 row_mask:0xf bank_mask:0xf// 000000005564: 0A582CFA FF015217
	v_mov_b32_e32 v45, v44                                     // 00000000556C: 7E5A032C
	v_pk_fma_f32 v[100:101], v[116:117], v[44:45], v[100:101]  // 000000005570: D3B04064 1D925974
	v_pk_fma_f32 v[102:103], v[118:119], v[44:45], v[102:103]  // 000000005578: D3B04066 1D9A5976
	v_pk_fma_f32 v[108:109], v[124:125], v[44:45], v[108:109]  // 000000005580: D3B0406C 1DB2597C
	v_pk_fma_f32 v[110:111], v[126:127], v[44:45], v[110:111]  // 000000005588: D3B0406E 1DBA597E
	s_add_u32 s60, 0x100, s80                                  // 000000005590: 803C50FF 00000100
	s_cmp_lt_u32 s60, s81                                      // 000000005598: BF0A513C
	s_cselect_b32 s4, s4, 0                                    // 00000000559C: 85048004
	s_add_u32 s32, s4, s32                                     // 0000000055A0: 80202004
	s_addc_u32 s33, 0, s33                                     // 0000000055A4: 82212180
	s_waitcnt vmcnt(4)                                         // 0000000055A8: BF8C0F74
	s_barrier                                                  // 0000000055AC: BF8A0000
	v_mfma_f32_16x16x128_f8f6f4 v[112:115], a[32:39], v[160:167], 0// 0000000055B0: D3AD0070 0A034120
	buffer_load_dwordx4 a[0:3], v34, s[24:27], 0 offen         // 0000000055B8: E05C1000 80860022
	buffer_load_dwordx4 a[4:7], v34, s[24:27], 0 offen offset:1024// 0000000055C0: E05C1400 80860422
	buffer_load_dword v23, v11, s[32:35], 0 offen              // 0000000055C8: E0501000 8008170B
	v_mfma_f32_16x16x128_f8f6f4 v[116:119], a[32:39], v[176:183], 0// 0000000055D0: D3AD0074 0A036120
	v_mfma_f32_16x16x128_f8f6f4 v[120:123], a[40:47], v[160:167], 0// 0000000055D8: D3AD0078 0A034128
	buffer_load_dwordx4 a[8:11], v35, s[24:27], 0 offen        // 0000000055E0: E05C1000 80860823
	buffer_load_dwordx4 a[12:15], v35, s[24:27], 0 offen offset:1024// 0000000055E8: E05C1400 80860C23
	v_mfma_f32_16x16x128_f8f6f4 v[124:127], a[40:47], v[176:183], 0// 0000000055F0: D3AD007C 0A036128
	v_mul_f32_dpp v44, v24, v19 row_newbcast:0 row_mask:0xf bank_mask:0xf// 0000000055F8: 0A5826FA FF015018
	v_mov_b32_e32 v45, v44                                     // 000000005600: 7E5A032C
	v_pk_fma_f32 v[64:65], v[112:113], v[44:45], v[64:65]      // 000000005604: D3B04040 1D025970
	v_pk_fma_f32 v[66:67], v[114:115], v[44:45], v[66:67]      // 00000000560C: D3B04042 1D0A5972
	v_pk_fma_f32 v[72:73], v[120:121], v[44:45], v[72:73]      // 000000005614: D3B04048 1D225978
	v_pk_fma_f32 v[74:75], v[122:123], v[44:45], v[74:75]      // 00000000561C: D3B0404A 1D2A597A
	v_mul_f32_dpp v44, v24, v20 row_newbcast:0 row_mask:0xf bank_mask:0xf// 000000005624: 0A5828FA FF015018
	v_mov_b32_e32 v45, v44                                     // 00000000562C: 7E5A032C
	v_pk_fma_f32 v[68:69], v[116:117], v[44:45], v[68:69]      // 000000005630: D3B04044 1D125974
	v_pk_fma_f32 v[70:71], v[118:119], v[44:45], v[70:71]      // 000000005638: D3B04046 1D1A5976
	v_pk_fma_f32 v[76:77], v[124:125], v[44:45], v[76:77]      // 000000005640: D3B0404C 1D32597C
	v_pk_fma_f32 v[78:79], v[126:127], v[44:45], v[78:79]      // 000000005648: D3B0404E 1D3A597E
	s_waitcnt vmcnt(5)                                         // 000000005650: BF8C0F75
	v_mfma_f32_16x16x128_f8f6f4 v[112:115], a[48:55], v[168:175], 0// 000000005654: D3AD0070 0A035130
	buffer_load_dwordx4 a[16:19], v34, s[24:27], 0 offen offset:2048// 00000000565C: E05C1800 80861022
	buffer_load_dwordx4 a[20:23], v34, s[24:27], 0 offen offset:3072// 000000005664: E05C1C00 80861422
	v_mfma_f32_16x16x128_f8f6f4 v[116:119], a[48:55], v[184:191], 0// 00000000566C: D3AD0074 0A037130
	s_waitcnt lgkmcnt(0)                                       // 000000005674: BF8CC07F
	s_barrier                                                  // 000000005678: BF8A0000
	ds_read_b128 v[128:131], v2                                // 00000000567C: D9FE0000 80000002
	ds_read_b128 v[132:135], v2 offset:64                      // 000000005684: D9FE0040 84000002
	ds_read_b128 v[136:139], v2 offset:4224                    // 00000000568C: D9FE1080 88000002
	ds_read_b128 v[140:143], v2 offset:4288                    // 000000005694: D9FE10C0 8C000002
	ds_read_b32 v15, v3 offset:8448                            // 00000000569C: D86C2100 0F000003
	ds_read_b32 v16, v3 offset:8704                            // 0000000056A4: D86C2200 10000003
	v_mfma_f32_16x16x128_f8f6f4 v[120:123], a[56:63], v[168:175], 0// 0000000056AC: D3AD0078 0A035138
	buffer_load_dwordx4 a[24:27], v35, s[24:27], 0 offen offset:2048// 0000000056B4: E05C1800 80861823
	buffer_load_dwordx4 a[28:31], v35, s[24:27], 0 offen offset:3072// 0000000056BC: E05C1C00 80861C23
	v_mfma_f32_16x16x128_f8f6f4 v[124:127], a[56:63], v[184:191], 0// 0000000056C4: D3AD007C 0A037138
	ds_read_b128 v[144:147], v2 offset:512                     // 0000000056CC: D9FE0200 90000002
	ds_read_b128 v[148:151], v2 offset:576                     // 0000000056D4: D9FE0240 94000002
	ds_read_b128 v[152:155], v2 offset:4736                    // 0000000056DC: D9FE1280 98000002
	ds_read_b128 v[156:159], v2 offset:4800                    // 0000000056E4: D9FE12C0 9C000002
	ds_read_b32 v17, v3 offset:8960                            // 0000000056EC: D86C2300 11000003
	ds_read_b32 v18, v3 offset:9216                            // 0000000056F4: D86C2400 12000003
	v_mul_f32_dpp v44, v24, v21 row_newbcast:2 row_mask:0xf bank_mask:0xf// 0000000056FC: 0A582AFA FF015218
	v_mov_b32_e32 v45, v44                                     // 000000005704: 7E5A032C
	v_pk_fma_f32 v[64:65], v[112:113], v[44:45], v[64:65]      // 000000005708: D3B04040 1D025970
	v_pk_fma_f32 v[66:67], v[114:115], v[44:45], v[66:67]      // 000000005710: D3B04042 1D0A5972
	v_pk_fma_f32 v[72:73], v[120:121], v[44:45], v[72:73]      // 000000005718: D3B04048 1D225978
	v_pk_fma_f32 v[74:75], v[122:123], v[44:45], v[74:75]      // 000000005720: D3B0404A 1D2A597A
	v_mul_f32_dpp v44, v24, v22 row_newbcast:2 row_mask:0xf bank_mask:0xf// 000000005728: 0A582CFA FF015218
	v_mov_b32_e32 v45, v44                                     // 000000005730: 7E5A032C
	v_pk_fma_f32 v[68:69], v[116:117], v[44:45], v[68:69]      // 000000005734: D3B04044 1D125974
	v_pk_fma_f32 v[70:71], v[118:119], v[44:45], v[70:71]      // 00000000573C: D3B04046 1D1A5976
	v_pk_fma_f32 v[76:77], v[124:125], v[44:45], v[76:77]      // 000000005744: D3B0404C 1D32597C
	v_pk_fma_f32 v[78:79], v[126:127], v[44:45], v[78:79]      // 00000000574C: D3B0404E 1D3A597E
	s_add_u32 s60, 0x200, s80                                  // 000000005754: 803C50FF 00000200
	s_cmp_lt_u32 s60, s81                                      // 00000000575C: BF0A513C
	s_cselect_b32 s57, s57, 0                                  // 000000005760: 85398039
	s_cselect_b32 s3, s3, 0                                    // 000000005764: 85038003
	s_add_u32 s60, 0x200, s80                                  // 000000005768: 803C50FF 00000200
	s_cmp_lt_u32 s60, s81                                      // 000000005770: BF0A513C
	s_cselect_b32 s58, s58, 0                                  // 000000005774: 853A803A
	s_add_u32 s20, s57, s20                                    // 000000005778: 80141439
	s_addc_u32 s21, 0, s21                                     // 00000000577C: 82151580
	s_add_u32 s28, s3, s28                                     // 000000005780: 801C1C03
	s_addc_u32 s29, 0, s29                                     // 000000005784: 821D1D80
	s_add_u32 s24, s58, s24                                    // 000000005788: 8018183A
	s_addc_u32 s25, 0, s25                                     // 00000000578C: 82191980
	s_add_u32 s92, s90, s92                                    // 000000005790: 805C5C5A
	s_addc_u32 s93, 0, s93                                     // 000000005794: 825D5D80
	s_addk_i32 s80, 0x100                                      // 000000005798: B7500100
	s_cmp_lt_i32 s80, s81                                      // 00000000579C: BF045150
	s_cbranch_scc0 label_0A6A                                  // 0000000057A0: BF840001
	s_branch label_08A9                                        // 0000000057A4: BF82FE3F

00000000000057a8 <label_0A6A>:
	s_mov_b32 s20, 0                                           // 0000000057A8: BE940080
	s_cmp_lt_u32 s89, s66                                      // 0000000057AC: BF0A4259
	s_cselect_b32 s60, 0, 1                                    // 0000000057B0: 853C8180
	s_lshl1_add_u32 s20, s20, s60                              // 0000000057B4: 97143C14
	s_cmp_lt_u32 s88, s66                                      // 0000000057B8: BF0A4258
	s_cselect_b32 s60, 0, 1                                    // 0000000057BC: 853C8180
	s_lshl1_add_u32 s20, s20, s60                              // 0000000057C0: 97143C14
	s_cmp_lt_u32 s87, s66                                      // 0000000057C4: BF0A4257
	s_cselect_b32 s60, 0, 1                                    // 0000000057C8: 853C8180
	s_lshl1_add_u32 s20, s20, s60                              // 0000000057CC: 97143C14
	s_cmp_lt_u32 s86, s66                                      // 0000000057D0: BF0A4256
	s_cselect_b32 s60, 0, 1                                    // 0000000057D4: 853C8180
	s_lshl1_add_u32 s20, s20, s60                              // 0000000057D8: 97143C14
	s_cmp_lt_u32 s85, s66                                      // 0000000057DC: BF0A4255
	s_cselect_b32 s60, 0, 1                                    // 0000000057E0: 853C8180
	s_lshl1_add_u32 s20, s20, s60                              // 0000000057E4: 97143C14
	s_cmp_lt_u32 s84, s66                                      // 0000000057E8: BF0A4254
	s_cselect_b32 s60, 0, 1                                    // 0000000057EC: 853C8180
	s_lshl1_add_u32 s20, s20, s60                              // 0000000057F0: 97143C14
	s_cmp_lt_u32 s83, s66                                      // 0000000057F4: BF0A4253
	s_cselect_b32 s60, 0, 1                                    // 0000000057F8: 853C8180
	s_lshl1_add_u32 s20, s20, s60                              // 0000000057FC: 97143C14
	s_cmp_lt_u32 s82, s66                                      // 000000005800: BF0A4252
	s_cselect_b32 s60, 0, 1                                    // 000000005804: 853C8180
	s_lshl1_add_u32 s20, s20, s60                              // 000000005808: 97143C14
	s_waitcnt vmcnt(4)                                         // 00000000580C: BF8C0F74
	buffer_load_dwordx4 a[0:3], v36, s[12:15], 0 offen         // 000000005810: E05C1000 80830024
	v_mul_f32_e32 v44, v96, v96                                // 000000005818: 0A58C160
	v_mul_f32_e32 v45, v97, v97                                // 00000000581C: 0A5AC361
	v_mul_f32_e32 v46, v98, v98                                // 000000005820: 0A5CC562
	v_mul_f32_e32 v47, v99, v99                                // 000000005824: 0A5EC763
	v_fma_f32 v44, v44, s77, v1                                // 000000005828: D1CB002C 04049B2C
	v_fma_f32 v45, v45, s77, v1                                // 000000005830: D1CB002D 04049B2D
	v_fma_f32 v46, v46, s77, v1                                // 000000005838: D1CB002E 04049B2E
	v_fma_f32 v47, v47, s77, v1                                // 000000005840: D1CB002F 04049B2F
	v_mul_f32_e32 v44, v44, v96                                // 000000005848: 0A58C12C
	v_mul_f32_e32 v45, v45, v97                                // 00000000584C: 0A5AC32D
	v_mul_f32_e32 v46, v46, v98                                // 000000005850: 0A5CC52E
	v_mul_f32_e32 v47, v47, v99                                // 000000005854: 0A5EC72F
	v_mul_f32_e64 v44, v44, s6                                 // 000000005858: D105002C 00000D2C
	v_mul_f32_e64 v45, v45, s6                                 // 000000005860: D105002D 00000D2D
	v_mul_f32_e64 v46, v46, s6                                 // 000000005868: D105002E 00000D2E
	v_mul_f32_e64 v47, v47, s6                                 // 000000005870: D105002F 00000D2F
	v_exp_f32_e32 v44, v44                                     // 000000005878: 7E58412C
	v_exp_f32_e32 v45, v45                                     // 00000000587C: 7E5A412D
	v_exp_f32_e32 v46, v46                                     // 000000005880: 7E5C412E
	v_exp_f32_e32 v47, v47                                     // 000000005884: 7E5E412F
	buffer_load_dwordx4 a[4:7], v36, s[12:15], 0 offen offset:1024// 000000005888: E05C1400 80830424
	v_add_f32_e64 v44, v44, 1.0                                // 000000005890: D101002C 0001E52C
	v_add_f32_e64 v45, v45, 1.0                                // 000000005898: D101002D 0001E52D
	v_add_f32_e64 v46, v46, 1.0                                // 0000000058A0: D101002E 0001E52E
	v_add_f32_e64 v47, v47, 1.0                                // 0000000058A8: D101002F 0001E52F
	v_rcp_f32_e32 v44, v44                                     // 0000000058B0: 7E58452C
	v_rcp_f32_e32 v45, v45                                     // 0000000058B4: 7E5A452D
	v_rcp_f32_e32 v46, v46                                     // 0000000058B8: 7E5C452E
	v_rcp_f32_e32 v47, v47                                     // 0000000058BC: 7E5E452F
	v_mul_f32_e32 v96, v96, v44                                // 0000000058C0: 0AC05960
	v_mul_f32_e32 v97, v97, v45                                // 0000000058C4: 0AC25B61
	v_mul_f32_e32 v98, v98, v46                                // 0000000058C8: 0AC45D62
	v_mul_f32_e32 v99, v99, v47                                // 0000000058CC: 0AC65F63
	v_mul_f32_e32 v96, v96, v64                                // 0000000058D0: 0AC08160
	v_mul_f32_e32 v97, v97, v65                                // 0000000058D4: 0AC28361
	v_mul_f32_e32 v98, v98, v66                                // 0000000058D8: 0AC48562
	v_mul_f32_e32 v99, v99, v67                                // 0000000058DC: 0AC68763
	buffer_load_dwordx4 a[8:11], v37, s[12:15], 0 offen        // 0000000058E0: E05C1000 80830825
	v_mul_f32_e32 v44, v100, v100                              // 0000000058E8: 0A58C964
	v_mul_f32_e32 v45, v101, v101                              // 0000000058EC: 0A5ACB65
	v_mul_f32_e32 v46, v102, v102                              // 0000000058F0: 0A5CCD66
	v_mul_f32_e32 v47, v103, v103                              // 0000000058F4: 0A5ECF67
	v_fma_f32 v44, v44, s77, v1                                // 0000000058F8: D1CB002C 04049B2C
	v_fma_f32 v45, v45, s77, v1                                // 000000005900: D1CB002D 04049B2D
	v_fma_f32 v46, v46, s77, v1                                // 000000005908: D1CB002E 04049B2E
	v_fma_f32 v47, v47, s77, v1                                // 000000005910: D1CB002F 04049B2F
	v_mul_f32_e32 v44, v44, v100                               // 000000005918: 0A58C92C
	v_mul_f32_e32 v45, v45, v101                               // 00000000591C: 0A5ACB2D
	v_mul_f32_e32 v46, v46, v102                               // 000000005920: 0A5CCD2E
	v_mul_f32_e32 v47, v47, v103                               // 000000005924: 0A5ECF2F
	v_mul_f32_e64 v44, v44, s6                                 // 000000005928: D105002C 00000D2C
	v_mul_f32_e64 v45, v45, s6                                 // 000000005930: D105002D 00000D2D
	v_mul_f32_e64 v46, v46, s6                                 // 000000005938: D105002E 00000D2E
	v_mul_f32_e64 v47, v47, s6                                 // 000000005940: D105002F 00000D2F
	v_exp_f32_e32 v44, v44                                     // 000000005948: 7E58412C
	v_exp_f32_e32 v45, v45                                     // 00000000594C: 7E5A412D
	v_exp_f32_e32 v46, v46                                     // 000000005950: 7E5C412E
	v_exp_f32_e32 v47, v47                                     // 000000005954: 7E5E412F
	buffer_load_dwordx4 a[12:15], v37, s[12:15], 0 offen offset:1024// 000000005958: E05C1400 80830C25
	v_add_f32_e64 v44, v44, 1.0                                // 000000005960: D101002C 0001E52C
	v_add_f32_e64 v45, v45, 1.0                                // 000000005968: D101002D 0001E52D
	v_add_f32_e64 v46, v46, 1.0                                // 000000005970: D101002E 0001E52E
	v_add_f32_e64 v47, v47, 1.0                                // 000000005978: D101002F 0001E52F
	v_rcp_f32_e32 v44, v44                                     // 000000005980: 7E58452C
	v_rcp_f32_e32 v45, v45                                     // 000000005984: 7E5A452D
	v_rcp_f32_e32 v46, v46                                     // 000000005988: 7E5C452E
	v_rcp_f32_e32 v47, v47                                     // 00000000598C: 7E5E452F
	v_mul_f32_e32 v100, v100, v44                              // 000000005990: 0AC85964
	v_mul_f32_e32 v101, v101, v45                              // 000000005994: 0ACA5B65
	v_mul_f32_e32 v102, v102, v46                              // 000000005998: 0ACC5D66
	v_mul_f32_e32 v103, v103, v47                              // 00000000599C: 0ACE5F67
	v_mul_f32_e32 v100, v100, v68                              // 0000000059A0: 0AC88964
	v_mul_f32_e32 v101, v101, v69                              // 0000000059A4: 0ACA8B65
	v_mul_f32_e32 v102, v102, v70                              // 0000000059A8: 0ACC8D66
	v_mul_f32_e32 v103, v103, v71                              // 0000000059AC: 0ACE8F67
	s_waitcnt vmcnt(4)                                         // 0000000059B0: BF8C0F74
	buffer_load_dwordx4 a[16:19], v38, s[12:15], 0 offen       // 0000000059B4: E05C1000 80831026
	v_mul_f32_e32 v44, v104, v104                              // 0000000059BC: 0A58D168
	v_mul_f32_e32 v45, v105, v105                              // 0000000059C0: 0A5AD369
	v_mul_f32_e32 v46, v106, v106                              // 0000000059C4: 0A5CD56A
	v_mul_f32_e32 v47, v107, v107                              // 0000000059C8: 0A5ED76B
	v_fma_f32 v44, v44, s77, v1                                // 0000000059CC: D1CB002C 04049B2C
	v_fma_f32 v45, v45, s77, v1                                // 0000000059D4: D1CB002D 04049B2D
	v_fma_f32 v46, v46, s77, v1                                // 0000000059DC: D1CB002E 04049B2E
	v_fma_f32 v47, v47, s77, v1                                // 0000000059E4: D1CB002F 04049B2F
	v_mul_f32_e32 v44, v44, v104                               // 0000000059EC: 0A58D12C
	v_mul_f32_e32 v45, v45, v105                               // 0000000059F0: 0A5AD32D
	v_mul_f32_e32 v46, v46, v106                               // 0000000059F4: 0A5CD52E
	v_mul_f32_e32 v47, v47, v107                               // 0000000059F8: 0A5ED72F
	v_mul_f32_e64 v44, v44, s6                                 // 0000000059FC: D105002C 00000D2C
	v_mul_f32_e64 v45, v45, s6                                 // 000000005A04: D105002D 00000D2D
	v_mul_f32_e64 v46, v46, s6                                 // 000000005A0C: D105002E 00000D2E
	v_mul_f32_e64 v47, v47, s6                                 // 000000005A14: D105002F 00000D2F
	v_exp_f32_e32 v44, v44                                     // 000000005A1C: 7E58412C
	v_exp_f32_e32 v45, v45                                     // 000000005A20: 7E5A412D
	v_exp_f32_e32 v46, v46                                     // 000000005A24: 7E5C412E
	v_exp_f32_e32 v47, v47                                     // 000000005A28: 7E5E412F
	buffer_load_dwordx4 a[20:23], v38, s[12:15], 0 offen offset:1024// 000000005A2C: E05C1400 80831426
	v_add_f32_e64 v44, v44, 1.0                                // 000000005A34: D101002C 0001E52C
	v_add_f32_e64 v45, v45, 1.0                                // 000000005A3C: D101002D 0001E52D
	v_add_f32_e64 v46, v46, 1.0                                // 000000005A44: D101002E 0001E52E
	v_add_f32_e64 v47, v47, 1.0                                // 000000005A4C: D101002F 0001E52F
	v_rcp_f32_e32 v44, v44                                     // 000000005A54: 7E58452C
	v_rcp_f32_e32 v45, v45                                     // 000000005A58: 7E5A452D
	v_rcp_f32_e32 v46, v46                                     // 000000005A5C: 7E5C452E
	v_rcp_f32_e32 v47, v47                                     // 000000005A60: 7E5E452F
	v_mul_f32_e32 v104, v104, v44                              // 000000005A64: 0AD05968
	v_mul_f32_e32 v105, v105, v45                              // 000000005A68: 0AD25B69
	v_mul_f32_e32 v106, v106, v46                              // 000000005A6C: 0AD45D6A
	v_mul_f32_e32 v107, v107, v47                              // 000000005A70: 0AD65F6B
	v_mul_f32_e32 v104, v104, v72                              // 000000005A74: 0AD09168
	v_mul_f32_e32 v105, v105, v73                              // 000000005A78: 0AD29369
	v_mul_f32_e32 v106, v106, v74                              // 000000005A7C: 0AD4956A
	v_mul_f32_e32 v107, v107, v75                              // 000000005A80: 0AD6976B
	buffer_load_dwordx4 a[24:27], v39, s[12:15], 0 offen       // 000000005A84: E05C1000 80831827
	v_mul_f32_e32 v44, v108, v108                              // 000000005A8C: 0A58D96C
	v_mul_f32_e32 v45, v109, v109                              // 000000005A90: 0A5ADB6D
	v_mul_f32_e32 v46, v110, v110                              // 000000005A94: 0A5CDD6E
	v_mul_f32_e32 v47, v111, v111                              // 000000005A98: 0A5EDF6F
	v_fma_f32 v44, v44, s77, v1                                // 000000005A9C: D1CB002C 04049B2C
	v_fma_f32 v45, v45, s77, v1                                // 000000005AA4: D1CB002D 04049B2D
	v_fma_f32 v46, v46, s77, v1                                // 000000005AAC: D1CB002E 04049B2E
	v_fma_f32 v47, v47, s77, v1                                // 000000005AB4: D1CB002F 04049B2F
	v_mul_f32_e32 v44, v44, v108                               // 000000005ABC: 0A58D92C
	v_mul_f32_e32 v45, v45, v109                               // 000000005AC0: 0A5ADB2D
	v_mul_f32_e32 v46, v46, v110                               // 000000005AC4: 0A5CDD2E
	v_mul_f32_e32 v47, v47, v111                               // 000000005AC8: 0A5EDF2F
	v_mul_f32_e64 v44, v44, s6                                 // 000000005ACC: D105002C 00000D2C
	v_mul_f32_e64 v45, v45, s6                                 // 000000005AD4: D105002D 00000D2D
	v_mul_f32_e64 v46, v46, s6                                 // 000000005ADC: D105002E 00000D2E
	v_mul_f32_e64 v47, v47, s6                                 // 000000005AE4: D105002F 00000D2F
	v_exp_f32_e32 v44, v44                                     // 000000005AEC: 7E58412C
	v_exp_f32_e32 v45, v45                                     // 000000005AF0: 7E5A412D
	v_exp_f32_e32 v46, v46                                     // 000000005AF4: 7E5C412E
	v_exp_f32_e32 v47, v47                                     // 000000005AF8: 7E5E412F
	buffer_load_dwordx4 a[28:31], v39, s[12:15], 0 offen offset:1024// 000000005AFC: E05C1400 80831C27
	v_add_f32_e64 v44, v44, 1.0                                // 000000005B04: D101002C 0001E52C
	v_add_f32_e64 v45, v45, 1.0                                // 000000005B0C: D101002D 0001E52D
	v_add_f32_e64 v46, v46, 1.0                                // 000000005B14: D101002E 0001E52E
	v_add_f32_e64 v47, v47, 1.0                                // 000000005B1C: D101002F 0001E52F
	v_rcp_f32_e32 v44, v44                                     // 000000005B24: 7E58452C
	v_rcp_f32_e32 v45, v45                                     // 000000005B28: 7E5A452D
	v_rcp_f32_e32 v46, v46                                     // 000000005B2C: 7E5C452E
	v_rcp_f32_e32 v47, v47                                     // 000000005B30: 7E5E452F
	v_mul_f32_e32 v108, v108, v44                              // 000000005B34: 0AD8596C
	v_mul_f32_e32 v109, v109, v45                              // 000000005B38: 0ADA5B6D
	v_mul_f32_e32 v110, v110, v46                              // 000000005B3C: 0ADC5D6E
	v_mul_f32_e32 v111, v111, v47                              // 000000005B40: 0ADE5F6F
	v_mul_f32_e32 v108, v108, v76                              // 000000005B44: 0AD8996C
	v_mul_f32_e32 v109, v109, v77                              // 000000005B48: 0ADA9B6D
	v_mul_f32_e32 v110, v110, v78                              // 000000005B4C: 0ADC9D6E
	v_mul_f32_e32 v111, v111, v79                              // 000000005B50: 0ADE9F6F
	v_lshlrev_b32_e32 v44, 2, v0                               // 000000005B54: 24580082
	s_mul_i32 s60, s82, s71                                    // 000000005B58: 923C4752
	v_add_u32_e64 v80, v44, s60                                // 000000005B5C: D1340050 0000792C
	v_mov_b32_e32 v81, 0                                       // 000000005B64: 7EA20280
	s_mul_i32 s60, s83, s71                                    // 000000005B68: 923C4753
	v_add_u32_e64 v82, v44, s60                                // 000000005B6C: D1340052 0000792C
	v_mov_b32_e32 v83, 0                                       // 000000005B74: 7EA60280
	s_mul_i32 s60, s84, s71                                    // 000000005B78: 923C4754
	v_add_u32_e64 v84, v44, s60                                // 000000005B7C: D1340054 0000792C
	v_mov_b32_e32 v85, 0                                       // 000000005B84: 7EAA0280
	s_mul_i32 s60, s85, s71                                    // 000000005B88: 923C4755
	v_add_u32_e64 v86, v44, s60                                // 000000005B8C: D1340056 0000792C
	v_mov_b32_e32 v87, 0                                       // 000000005B94: 7EAE0280
	s_mul_i32 s60, s86, s71                                    // 000000005B98: 923C4756
	v_add_u32_e64 v88, v44, s60                                // 000000005B9C: D1340058 0000792C
	v_mov_b32_e32 v89, 0                                       // 000000005BA4: 7EB20280
	s_mul_i32 s60, s87, s71                                    // 000000005BA8: 923C4757
	v_add_u32_e64 v90, v44, s60                                // 000000005BAC: D134005A 0000792C
	v_mov_b32_e32 v91, 0                                       // 000000005BB4: 7EB60280
	s_mul_i32 s60, s88, s71                                    // 000000005BB8: 923C4758
	v_add_u32_e64 v92, v44, s60                                // 000000005BBC: D134005C 0000792C
	v_mov_b32_e32 v93, 0                                       // 000000005BC4: 7EBA0280
	s_mul_i32 s60, s89, s71                                    // 000000005BC8: 923C4759
	v_add_u32_e64 v94, v44, s60                                // 000000005BCC: D134005E 0000792C
	v_mov_b32_e32 v95, 0                                       // 000000005BD4: 7EBE0280
	buffer_load_dword v23, v6, s[16:19], 0 offen               // 000000005BD8: E0501000 80041706
	v_mov_b32_e32 v28, 0x358637bd                              // 000000005BE0: 7E3802FF 358637BD
	v_mov_b32_e32 v29, 0x358637bd                              // 000000005BE8: 7E3A02FF 358637BD
	v_max3_f32 v28, |v96|, |v97|, v28                          // 000000005BF0: D1D3031C 0472C360
	v_max3_f32 v28, |v98|, |v99|, v28                          // 000000005BF8: D1D3031C 0472C762
	v_max3_f32 v29, |v100|, |v101|, v29                        // 000000005C00: D1D3031D 0476CB64
	v_max3_f32 v29, |v102|, |v103|, v29                        // 000000005C08: D1D3031D 0476CF66
	v_max3_f32 v28, |v104|, |v105|, v28                        // 000000005C10: D1D3031C 0472D368
	v_max3_f32 v28, |v106|, |v107|, v28                        // 000000005C18: D1D3031C 0472D76A
	v_max3_f32 v29, |v108|, |v109|, v29                        // 000000005C20: D1D3031D 0476DB6C
	v_max3_f32 v29, |v110|, |v111|, v29                        // 000000005C28: D1D3031D 0476DF6E
	v_mov_b32_e32 v44, v28                                     // 000000005C30: 7E58031C
	s_nop 1                                                    // 000000005C34: BF800001
	v_permlane32_swap_b32_e32 v44, v28                         // 000000005C38: 7E58B51C
	v_max_f32_e32 v28, v44, v28                                // 000000005C3C: 1638392C
	v_mov_b32_e32 v44, v28                                     // 000000005C40: 7E58031C
	s_nop 1                                                    // 000000005C44: BF800001
	v_permlane16_swap_b32_e32 v44, v28                         // 000000005C48: 7E58B31C
	v_max_f32_e32 v28, v44, v28                                // 000000005C4C: 1638392C
	v_mov_b32_e32 v44, v29                                     // 000000005C50: 7E58031D
	s_nop 1                                                    // 000000005C54: BF800001
	v_permlane32_swap_b32_e32 v44, v29                         // 000000005C58: 7E58B51D
	v_max_f32_e32 v29, v44, v29                                // 000000005C5C: 163A3B2C
	v_mov_b32_e32 v44, v29                                     // 000000005C60: 7E58031D
	s_nop 1                                                    // 000000005C64: BF800001
	v_permlane16_swap_b32_e32 v44, v29                         // 000000005C68: 7E58B31D
	v_max_f32_e32 v29, v44, v29                                // 000000005C6C: 163A3B2C
	v_lshlrev_b32_e32 v44, 2, v0                               // 000000005C70: 24580082
	s_mul_i32 s60, 64, s7                                      // 000000005C74: 923C07C0
	v_add_u32_e32 v44, s60, v44                                // 000000005C78: 6858583C
	s_mov_b32 s60, 0xffff                                      // 000000005C7C: BEBC00FF 0000FFFF
	s_mov_b32 s61, 0                                           // 000000005C84: BEBD0080
	s_mov_b64 exec, s[60:61]                                   // 000000005C88: BEFE013C
	ds_write_b32 v44, v28 offset:18944                         // 000000005C8C: D81A4A00 00001C2C
	ds_write_b32 v44, v29 offset:19200                         // 000000005C94: D81A4B00 00001D2C
	s_mov_b32 s60, -1                                          // 000000005C9C: BEBC00C1
	s_mov_b32 s61, -1                                          // 000000005CA0: BEBD00C1
	s_mov_b64 exec, s[60:61]                                   // 000000005CA4: BEFE013C
	s_waitcnt lgkmcnt(0)                                       // 000000005CA8: BF8CC07F
	s_barrier                                                  // 000000005CAC: BF8A0000
	v_lshlrev_b32_e32 v44, 2, v0                               // 000000005CB0: 24580082
	ds_read_b32 v112, v44 offset:18944                         // 000000005CB4: D86C4A00 7000002C
	ds_read_b32 v113, v44 offset:19200                         // 000000005CBC: D86C4B00 7100002C
	s_waitcnt lgkmcnt(0)                                       // 000000005CC4: BF8CC07F
	v_mov_b32_e32 v44, v112                                    // 000000005CC8: 7E580370
	s_nop 1                                                    // 000000005CCC: BF800001
	v_permlane32_swap_b32_e32 v44, v112                        // 000000005CD0: 7E58B570
	v_max_f32_e32 v112, v44, v112                              // 000000005CD4: 16E0E12C
	v_mov_b32_e32 v44, v112                                    // 000000005CD8: 7E580370
	s_nop 1                                                    // 000000005CDC: BF800001
	v_permlane16_swap_b32_e32 v44, v112                        // 000000005CE0: 7E58B370
	v_max_f32_e32 v112, v44, v112                              // 000000005CE4: 16E0E12C
	v_mov_b32_e32 v44, v113                                    // 000000005CE8: 7E580371
	s_nop 1                                                    // 000000005CEC: BF800001
	v_permlane32_swap_b32_e32 v44, v113                        // 000000005CF0: 7E58B571
	v_max_f32_e32 v113, v44, v113                              // 000000005CF4: 16E2E32C
	v_mov_b32_e32 v44, v113                                    // 000000005CF8: 7E580371
	s_nop 1                                                    // 000000005CFC: BF800001
	v_permlane16_swap_b32_e32 v44, v113                        // 000000005D00: 7E58B371
	v_max_f32_e32 v113, v44, v113                              // 000000005D04: 16E2E32C
	v_max_f32_e32 v28, v112, v28                               // 000000005D08: 16383970
	v_max_f32_e32 v29, v113, v29                               // 000000005D0C: 163A3B71
	v_rcp_f32_e32 v28, v28                                     // 000000005D10: 7E38451C
	v_rcp_f32_e32 v29, v29                                     // 000000005D14: 7E3A451D
	v_mov_b32_e32 v44, 0x43e00000                              // 000000005D18: 7E5802FF 43E00000
	v_mul_f32_e32 v28, v44, v28                                // 000000005D20: 0A38392C
	v_mul_f32_e32 v29, v44, v29                                // 000000005D24: 0A3A3B2C
	v_mul_f32_e32 v96, v28, v96                                // 000000005D28: 0AC0C11C
	v_mul_f32_e32 v97, v28, v97                                // 000000005D2C: 0AC2C31C
	v_mul_f32_e32 v98, v28, v98                                // 000000005D30: 0AC4C51C
	v_mul_f32_e32 v99, v28, v99                                // 000000005D34: 0AC6C71C
	v_cvt_pk_fp8_f32 v96, v96, v97                             // 000000005D38: D2A20060 0002C360
	v_cvt_pk_fp8_f32 v96, v98, v99 op_sel:[0,0,1]              // 000000005D40: D2A24060 0002C762
	v_mul_f32_e32 v100, v29, v100                              // 000000005D48: 0AC8C91D
	v_mul_f32_e32 v101, v29, v101                              // 000000005D4C: 0ACACB1D
	v_mul_f32_e32 v102, v29, v102                              // 000000005D50: 0ACCCD1D
	v_mul_f32_e32 v103, v29, v103                              // 000000005D54: 0ACECF1D
	v_cvt_pk_fp8_f32 v97, v100, v101                           // 000000005D58: D2A20061 0002CB64
	v_cvt_pk_fp8_f32 v97, v102, v103 op_sel:[0,0,1]            // 000000005D60: D2A24061 0002CF66
	v_mul_f32_e32 v104, v28, v104                              // 000000005D68: 0AD0D11C
	v_mul_f32_e32 v105, v28, v105                              // 000000005D6C: 0AD2D31C
	v_mul_f32_e32 v106, v28, v106                              // 000000005D70: 0AD4D51C
	v_mul_f32_e32 v107, v28, v107                              // 000000005D74: 0AD6D71C
	v_cvt_pk_fp8_f32 v98, v104, v105                           // 000000005D78: D2A20062 0002D368
	v_cvt_pk_fp8_f32 v98, v106, v107 op_sel:[0,0,1]            // 000000005D80: D2A24062 0002D76A
	v_mul_f32_e32 v108, v29, v108                              // 000000005D88: 0AD8D91D
	v_mul_f32_e32 v109, v29, v109                              // 000000005D8C: 0ADADB1D
	v_mul_f32_e32 v110, v29, v110                              // 000000005D90: 0ADCDD1D
	v_mul_f32_e32 v111, v29, v111                              // 000000005D94: 0ADEDF1D
	v_cvt_pk_fp8_f32 v99, v108, v109                           // 000000005D98: D2A20063 0002DB6C
	v_cvt_pk_fp8_f32 v99, v110, v111 op_sel:[0,0,1]            // 000000005DA0: D2A24063 0002DF6E
	v_rcp_f32_e32 v30, v28                                     // 000000005DA8: 7E3C451C
	v_rcp_f32_e32 v31, v29                                     // 000000005DAC: 7E3E451D
	v_lshrrev_b32_e32 v44, 5, v0                               // 000000005DB0: 20580085
	v_lshlrev_b32_e32 v45, 6, v44                              // 000000005DB4: 245A5886
	v_and_b32_e32 v44, 31, v0                                  // 000000005DB8: 2658009F
	v_lshrrev_b32_e32 v46, 4, v44                              // 000000005DBC: 205C5884
	v_add_u32_e32 v45, v46, v45                                // 000000005DC0: 685A5B2E
	v_and_b32_e32 v44, 15, v0                                  // 000000005DC4: 2658008F
	v_lshlrev_b32_e32 v44, 1, v44                              // 000000005DC8: 24585881
	v_add_u32_e32 v45, v44, v45                                // 000000005DCC: 685A5B2C
	v_lshlrev_b32_e32 v44, 2, v45                              // 000000005DD0: 24585A82
	s_mov_b32 s60, 0                                           // 000000005DD4: BEBC0080
	s_lshr_b32 s61, s7, 1                                      // 000000005DD8: 8F3D8107
	s_mul_i32 s61, s61, 0x200                                  // 000000005DDC: 923DFF3D 00000200
	s_add_u32 s60, s61, s60                                    // 000000005DE4: 803C3C3D
	s_and_b32 s61, s7, 1                                       // 000000005DE8: 863D8107
	s_mul_i32 s61, s61, 0x80                                   // 000000005DEC: 923DFF3D 00000080
	s_add_u32 s60, s61, s60                                    // 000000005DF4: 803C3C3D
	v_add_u32_e64 v44, v44, s60                                // 000000005DF8: D134002C 0000792C
	ds_write_b32 v44, v96 offset:20992                         // 000000005E00: D81A5200 0000602C
	ds_write_b32 v44, v97 offset:23040                         // 000000005E08: D81A5A00 0000612C
	ds_write_b32 v44, v98 offset:22016                         // 000000005E10: D81A5600 0000622C
	ds_write_b32 v44, v99 offset:24064                         // 000000005E18: D81A5E00 0000632C
	s_waitcnt lgkmcnt(0)                                       // 000000005E20: BF8CC07F
	s_barrier                                                  // 000000005E24: BF8A0000
	v_and_b32_e32 v44, 31, v0                                  // 000000005E28: 2658009F
	v_lshrrev_b32_e32 v44, 4, v44                              // 000000005E2C: 20585884
	v_lshlrev_b32_e32 v45, 5, v44                              // 000000005E30: 245A5885
	v_lshrrev_b32_e32 v44, 5, v0                               // 000000005E34: 20580085
	v_lshlrev_b32_e32 v44, 7, v44                              // 000000005E38: 24585887
	v_add_u32_e32 v45, v44, v45                                // 000000005E3C: 685A5B2C
	v_and_b32_e32 v44, 15, v0                                  // 000000005E40: 2658008F
	v_lshlrev_b32_e32 v44, 1, v44                              // 000000005E44: 24585881
	v_add_u32_e32 v45, v44, v45                                // 000000005E48: 685A5B2C
	v_lshlrev_b32_e32 v44, 2, v45                              // 000000005E4C: 24585A82
	ds_read_b64 v[96:97], v44 offset:20992                     // 000000005E50: D8EC5200 6000002C
	ds_read_b64 v[98:99], v44 offset:21248                     // 000000005E58: D8EC5300 6200002C
	ds_read_b64 v[100:101], v44 offset:22016                   // 000000005E60: D8EC5600 6400002C
	ds_read_b64 v[102:103], v44 offset:22272                   // 000000005E68: D8EC5700 6600002C
	ds_read_b64 v[104:105], v44 offset:23040                   // 000000005E70: D8EC5A00 6800002C
	ds_read_b64 v[106:107], v44 offset:23296                   // 000000005E78: D8EC5B00 6A00002C
	ds_read_b64 v[108:109], v44 offset:24064                   // 000000005E80: D8EC5E00 6C00002C
	ds_read_b64 v[110:111], v44 offset:24320                   // 000000005E88: D8EC5F00 6E00002C
	s_add_u32 s12, s56, s12                                    // 000000005E90: 800C0C38
	s_addc_u32 s13, 0, s13                                     // 000000005E94: 820D0D80
	s_add_u32 s16, s79, s16                                    // 000000005E98: 8010104F
	s_addc_u32 s17, 0, s17                                     // 000000005E9C: 82111180
	s_waitcnt lgkmcnt(0)                                       // 000000005EA0: BF8CC07F
	s_barrier                                                  // 000000005EA4: BF8A0000
	v_mov_b32_e32 v128, 0                                      // 000000005EA8: 7F000280
	v_mov_b32_e32 v160, 0                                      // 000000005EAC: 7F400280
	v_mov_b32_e32 v129, 0                                      // 000000005EB0: 7F020280
	v_mov_b32_e32 v161, 0                                      // 000000005EB4: 7F420280
	v_mov_b32_e32 v130, 0                                      // 000000005EB8: 7F040280
	v_mov_b32_e32 v162, 0                                      // 000000005EBC: 7F440280
	v_mov_b32_e32 v131, 0                                      // 000000005EC0: 7F060280
	v_mov_b32_e32 v163, 0                                      // 000000005EC4: 7F460280
	v_mov_b32_e32 v132, 0                                      // 000000005EC8: 7F080280
	v_mov_b32_e32 v164, 0                                      // 000000005ECC: 7F480280
	v_mov_b32_e32 v133, 0                                      // 000000005ED0: 7F0A0280
	v_mov_b32_e32 v165, 0                                      // 000000005ED4: 7F4A0280
	v_mov_b32_e32 v134, 0                                      // 000000005ED8: 7F0C0280
	v_mov_b32_e32 v166, 0                                      // 000000005EDC: 7F4C0280
	v_mov_b32_e32 v135, 0                                      // 000000005EE0: 7F0E0280
	v_mov_b32_e32 v167, 0                                      // 000000005EE4: 7F4E0280
	v_mov_b32_e32 v136, 0                                      // 000000005EE8: 7F100280
	v_mov_b32_e32 v168, 0                                      // 000000005EEC: 7F500280
	v_mov_b32_e32 v137, 0                                      // 000000005EF0: 7F120280
	v_mov_b32_e32 v169, 0                                      // 000000005EF4: 7F520280
	v_mov_b32_e32 v138, 0                                      // 000000005EF8: 7F140280
	v_mov_b32_e32 v170, 0                                      // 000000005EFC: 7F540280
	v_mov_b32_e32 v139, 0                                      // 000000005F00: 7F160280
	v_mov_b32_e32 v171, 0                                      // 000000005F04: 7F560280
	v_mov_b32_e32 v140, 0                                      // 000000005F08: 7F180280
	v_mov_b32_e32 v172, 0                                      // 000000005F0C: 7F580280
	v_mov_b32_e32 v141, 0                                      // 000000005F10: 7F1A0280
	v_mov_b32_e32 v173, 0                                      // 000000005F14: 7F5A0280
	v_mov_b32_e32 v142, 0                                      // 000000005F18: 7F1C0280
	v_mov_b32_e32 v174, 0                                      // 000000005F1C: 7F5C0280
	v_mov_b32_e32 v143, 0                                      // 000000005F20: 7F1E0280
	v_mov_b32_e32 v175, 0                                      // 000000005F24: 7F5E0280
	ds_write_b64 v4, v[128:129] offset:20992                   // 000000005F28: D89A5200 00008004
	ds_write_b64 v4, v[130:131] offset:29696                   // 000000005F30: D89A7400 00008204
	ds_write_b64 v4, v[132:133] offset:23168                   // 000000005F38: D89A5A80 00008404
	ds_write_b64 v4, v[134:135] offset:31872                   // 000000005F40: D89A7C80 00008604
	ds_write_b64 v4, v[136:137] offset:25344                   // 000000005F48: D89A6300 00008804
	ds_write_b64 v4, v[138:139] offset:34048                   // 000000005F50: D89A8500 00008A04
	ds_write_b64 v4, v[140:141] offset:27520                   // 000000005F58: D89A6B80 00008C04
	ds_write_b64 v4, v[142:143] offset:36224                   // 000000005F60: D89A8D80 00008E04
	s_mov_b32 s80, 0                                           // 000000005F68: BED00080
	s_waitcnt vmcnt(0) expcnt(0) lgkmcnt(0)                    // 000000005F6C: BF8C0000

0000000000005f70 <label_0C5C>:
	s_waitcnt vmcnt(4) lgkmcnt(0)                              // 000000005F70: BF8C0074
	s_barrier                                                  // 000000005F74: BF8A0000
	v_mfma_f32_16x16x128_f8f6f4 v[128:131], a[0:7], v[96:103], 0// 000000005F78: D3AD0080 0A02C100
	buffer_load_dwordx4 a[32:35], v36, s[12:15], 0 offen       // 000000005F80: E05C1000 80832024
	buffer_load_dwordx4 a[36:39], v36, s[12:15], 0 offen offset:1024// 000000005F88: E05C1400 80832424
	v_mfma_f32_16x16x128_f8f6f4 v[132:135], a[0:7], v[104:111], 0// 000000005F90: D3AD0084 0A02D100
	ds_read_b32 v64, v5 offset:20992                           // 000000005F98: D86C5200 40000005
	ds_read_b32 v65, v5 offset:25344                           // 000000005FA0: D86C6300 41000005
	ds_read_b32 v66, v5 offset:21000                           // 000000005FA8: D86C5208 42000005
	ds_read_b32 v67, v5 offset:25352                           // 000000005FB0: D86C6308 43000005
	v_mfma_f32_16x16x128_f8f6f4 v[136:139], a[8:15], v[96:103], 0// 000000005FB8: D3AD0088 0A02C108
	buffer_load_dwordx4 a[40:43], v37, s[12:15], 0 offen       // 000000005FC0: E05C1000 80832825
	buffer_load_dwordx4 a[44:47], v37, s[12:15], 0 offen offset:1024// 000000005FC8: E05C1400 80832C25
	buffer_load_dword v24, v6, s[16:19], 0 offen               // 000000005FD0: E0501000 80041806
	v_mfma_f32_16x16x128_f8f6f4 v[140:143], a[8:15], v[104:111], 0// 000000005FD8: D3AD008C 0A02D108
	ds_read_b32 v68, v5 offset:21024                           // 000000005FE0: D86C5220 44000005
	ds_read_b32 v69, v5 offset:25376                           // 000000005FE8: D86C6320 45000005
	ds_read_b32 v70, v5 offset:21032                           // 000000005FF0: D86C5228 46000005
	ds_read_b32 v71, v5 offset:25384                           // 000000005FF8: D86C6328 47000005
	s_waitcnt vmcnt(5)                                         // 000000006000: BF8C0F75
	v_mfma_f32_16x16x128_f8f6f4 v[144:147], a[16:23], v[96:103], 0// 000000006004: D3AD0090 0A02C110
	buffer_load_dwordx4 a[48:51], v38, s[12:15], 0 offen       // 00000000600C: E05C1000 80833026
	buffer_load_dwordx4 a[52:55], v38, s[12:15], 0 offen offset:1024// 000000006014: E05C1400 80833426
	v_mfma_f32_16x16x128_f8f6f4 v[148:151], a[16:23], v[104:111], 0// 00000000601C: D3AD0094 0A02D110
	ds_read_b32 v72, v5 offset:29696                           // 000000006024: D86C7400 48000005
	ds_read_b32 v73, v5 offset:34048                           // 00000000602C: D86C8500 49000005
	ds_read_b32 v74, v5 offset:29704                           // 000000006034: D86C7408 4A000005
	ds_read_b32 v75, v5 offset:34056                           // 00000000603C: D86C8508 4B000005
	ds_write_b64 v4, v[160:161] offset:38400                   // 000000006044: D89A9600 0000A004
	ds_write_b64 v4, v[162:163] offset:47104                   // 00000000604C: D89AB800 0000A204
	ds_write_b64 v4, v[164:165] offset:40576                   // 000000006054: D89A9E80 0000A404
	ds_write_b64 v4, v[166:167] offset:49280                   // 00000000605C: D89AC080 0000A604
	v_mfma_f32_16x16x128_f8f6f4 v[152:155], a[24:31], v[96:103], 0// 000000006064: D3AD0098 0A02C118
	buffer_load_dwordx4 a[56:59], v39, s[12:15], 0 offen       // 00000000606C: E05C1000 80833827
	buffer_load_dwordx4 a[60:63], v39, s[12:15], 0 offen offset:1024// 000000006074: E05C1400 80833C27
	v_mfma_f32_16x16x128_f8f6f4 v[156:159], a[24:31], v[104:111], 0// 00000000607C: D3AD009C 0A02D118
	ds_read_b32 v76, v5 offset:29728                           // 000000006084: D86C7420 4C000005
	ds_read_b32 v77, v5 offset:34080                           // 00000000608C: D86C8520 4D000005
	ds_read_b32 v78, v5 offset:29736                           // 000000006094: D86C7428 4E000005
	ds_read_b32 v79, v5 offset:34088                           // 00000000609C: D86C8528 4F000005
	ds_write_b64 v4, v[168:169] offset:42752                   // 0000000060A4: D89AA700 0000A804
	ds_write_b64 v4, v[170:171] offset:51456                   // 0000000060AC: D89AC900 0000AA04
	ds_write_b64 v4, v[172:173] offset:44928                   // 0000000060B4: D89AAF80 0000AC04
	ds_write_b64 v4, v[174:175] offset:53632                   // 0000000060BC: D89AD180 0000AE04
	v_mul_f32_dpp v44, v23, v30 row_newbcast:0 row_mask:0xf bank_mask:0xf// 0000000060C4: 0A583CFA FF015017
	v_mov_b32_e32 v45, v44                                     // 0000000060CC: 7E5A032C
	v_pk_mul_f32 v[128:129], v[44:45], v[128:129]              // 0000000060D0: D3B14080 1803012C
	v_pk_mul_f32 v[130:131], v[44:45], v[130:131]              // 0000000060D8: D3B14082 1803052C
	v_pk_mul_f32 v[136:137], v[44:45], v[136:137]              // 0000000060E0: D3B14088 1803112C
	v_pk_mul_f32 v[138:139], v[44:45], v[138:139]              // 0000000060E8: D3B1408A 1803152C
	v_mul_f32_dpp v44, v23, v30 row_newbcast:1 row_mask:0xf bank_mask:0xf// 0000000060F0: 0A583CFA FF015117
	v_mov_b32_e32 v45, v44                                     // 0000000060F8: 7E5A032C
	v_pk_mul_f32 v[144:145], v[44:45], v[144:145]              // 0000000060FC: D3B14090 1803212C
	v_pk_mul_f32 v[146:147], v[44:45], v[146:147]              // 000000006104: D3B14092 1803252C
	v_pk_mul_f32 v[152:153], v[44:45], v[152:153]              // 00000000610C: D3B14098 1803312C
	v_pk_mul_f32 v[154:155], v[44:45], v[154:155]              // 000000006114: D3B1409A 1803352C
	v_mul_f32_dpp v44, v23, v31 row_newbcast:0 row_mask:0xf bank_mask:0xf// 00000000611C: 0A583EFA FF015017
	v_mov_b32_e32 v45, v44                                     // 000000006124: 7E5A032C
	v_pk_mul_f32 v[132:133], v[44:45], v[132:133]              // 000000006128: D3B14084 1803092C
	v_pk_mul_f32 v[134:135], v[44:45], v[134:135]              // 000000006130: D3B14086 18030D2C
	v_pk_mul_f32 v[140:141], v[44:45], v[140:141]              // 000000006138: D3B1408C 1803192C
	v_pk_mul_f32 v[142:143], v[44:45], v[142:143]              // 000000006140: D3B1408E 18031D2C
	v_mul_f32_dpp v44, v23, v31 row_newbcast:1 row_mask:0xf bank_mask:0xf// 000000006148: 0A583EFA FF015117
	v_mov_b32_e32 v45, v44                                     // 000000006150: 7E5A032C
	v_pk_mul_f32 v[148:149], v[44:45], v[148:149]              // 000000006154: D3B14094 1803292C
	v_pk_mul_f32 v[150:151], v[44:45], v[150:151]              // 00000000615C: D3B14096 18032D2C
	v_pk_mul_f32 v[156:157], v[44:45], v[156:157]              // 000000006164: D3B1409C 1803392C
	v_pk_mul_f32 v[158:159], v[44:45], v[158:159]              // 00000000616C: D3B1409E 18033D2C
	s_add_u32 s60, 0x200, s80                                  // 000000006174: 803C50FF 00000200
	s_cmp_lt_u32 s60, s81                                      // 00000000617C: BF0A513C
	s_cselect_b32 s56, s56, 0                                  // 000000006180: 85388038
	s_cselect_b32 s78, s78, 0                                  // 000000006184: 854E804E
	s_cselect_b32 s79, s79, 0                                  // 000000006188: 854F804F
	s_add_u32 s12, s56, s12                                    // 00000000618C: 800C0C38
	s_addc_u32 s13, 0, s13                                     // 000000006190: 820D0D80
	s_add_u32 s16, s79, s16                                    // 000000006194: 8010104F
	s_addc_u32 s17, 0, s17                                     // 000000006198: 82111180
	v_mov_b32_e32 v44, v25                                     // 00000000619C: 7E580319
	v_mov_b32_e32 v45, v25                                     // 0000000061A0: 7E5A0319
	v_pk_mul_f32 v[128:129], v[44:45], v[128:129]              // 0000000061A4: D3B14080 1803012C
	v_pk_mul_f32 v[130:131], v[44:45], v[130:131]              // 0000000061AC: D3B14082 1803052C
	v_pk_mul_f32 v[136:137], v[44:45], v[136:137]              // 0000000061B4: D3B14088 1803112C
	v_pk_mul_f32 v[138:139], v[44:45], v[138:139]              // 0000000061BC: D3B1408A 1803152C
	v_pk_mul_f32 v[144:145], v[44:45], v[144:145]              // 0000000061C4: D3B14090 1803212C
	v_pk_mul_f32 v[146:147], v[44:45], v[146:147]              // 0000000061CC: D3B14092 1803252C
	v_pk_mul_f32 v[152:153], v[44:45], v[152:153]              // 0000000061D4: D3B14098 1803312C
	v_pk_mul_f32 v[154:155], v[44:45], v[154:155]              // 0000000061DC: D3B1409A 1803352C
	v_mov_b32_e32 v44, v26                                     // 0000000061E4: 7E58031A
	v_mov_b32_e32 v45, v26                                     // 0000000061E8: 7E5A031A
	v_pk_mul_f32 v[132:133], v[44:45], v[132:133]              // 0000000061EC: D3B14084 1803092C
	v_pk_mul_f32 v[134:135], v[44:45], v[134:135]              // 0000000061F4: D3B14086 18030D2C
	v_pk_mul_f32 v[140:141], v[44:45], v[140:141]              // 0000000061FC: D3B1408C 1803192C
	v_pk_mul_f32 v[142:143], v[44:45], v[142:143]              // 000000006204: D3B1408E 18031D2C
	v_pk_mul_f32 v[148:149], v[44:45], v[148:149]              // 00000000620C: D3B14094 1803292C
	v_pk_mul_f32 v[150:151], v[44:45], v[150:151]              // 000000006214: D3B14096 18032D2C
	v_pk_mul_f32 v[156:157], v[44:45], v[156:157]              // 00000000621C: D3B1409C 1803392C
	v_pk_mul_f32 v[158:159], v[44:45], v[158:159]              // 000000006224: D3B1409E 18033D2C
	v_cvt_pk_bf16_f32 v128, v128, v129                         // 00000000622C: D2680080 00030380
	v_cvt_pk_bf16_f32 v129, v130, v131                         // 000000006234: D2680081 00030782
	v_cvt_pk_bf16_f32 v130, v132, v133                         // 00000000623C: D2680082 00030B84
	v_cvt_pk_bf16_f32 v131, v134, v135                         // 000000006244: D2680083 00030F86
	v_cvt_pk_bf16_f32 v132, v136, v137                         // 00000000624C: D2680084 00031388
	v_cvt_pk_bf16_f32 v133, v138, v139                         // 000000006254: D2680085 0003178A
	v_cvt_pk_bf16_f32 v134, v140, v141                         // 00000000625C: D2680086 00031B8C
	v_cvt_pk_bf16_f32 v135, v142, v143                         // 000000006264: D2680087 00031F8E
	v_cvt_pk_bf16_f32 v136, v144, v145                         // 00000000626C: D2680088 00032390
	v_cvt_pk_bf16_f32 v137, v146, v147                         // 000000006274: D2680089 00032792
	v_cvt_pk_bf16_f32 v138, v148, v149                         // 00000000627C: D268008A 00032B94
	v_cvt_pk_bf16_f32 v139, v150, v151                         // 000000006284: D268008B 00032F96
	v_cvt_pk_bf16_f32 v140, v152, v153                         // 00000000628C: D268008C 00033398
	v_cvt_pk_bf16_f32 v141, v154, v155                         // 000000006294: D268008D 0003379A
	v_cvt_pk_bf16_f32 v142, v156, v157                         // 00000000629C: D268008E 00033B9C
	v_cvt_pk_bf16_f32 v143, v158, v159                         // 0000000062A4: D268008F 00033F9E
	s_cmp_ge_u32 s80, 0x200                                    // 0000000062AC: BF09FF50 00000200
	s_cselect_b32 s59, 0x200, s59                              // 0000000062B4: 853B3BFF 00000200
	s_setvskip s20, 0                                          // 0000000062BC: BF108014
	global_atomic_pk_add_bf16 v80, v64, s[8:9]                 // 0000000062C0: DD488000 00084050
	s_setvskip 0, 0                                            // 0000000062C8: BF108080
	s_setvskip s20, 0                                          // 0000000062CC: BF108014
	global_atomic_pk_add_bf16 v80, v65, s[8:9] offset:256      // 0000000062D0: DD488100 00084150
	s_setvskip 0, 0                                            // 0000000062D8: BF108080
	s_setvskip s20, 1                                          // 0000000062DC: BF108114
	global_atomic_pk_add_bf16 v82, v66, s[8:9]                 // 0000000062E0: DD488000 00084252
	s_setvskip 0, 0                                            // 0000000062E8: BF108080
	s_setvskip s20, 1                                          // 0000000062EC: BF108114
	global_atomic_pk_add_bf16 v82, v67, s[8:9] offset:256      // 0000000062F0: DD488100 00084352
	s_setvskip 0, 0                                            // 0000000062F8: BF108080
	s_setvskip s20, 2                                          // 0000000062FC: BF108214
	global_atomic_pk_add_bf16 v84, v68, s[8:9]                 // 000000006300: DD488000 00084454
	s_setvskip 0, 0                                            // 000000006308: BF108080
	s_setvskip s20, 2                                          // 00000000630C: BF108214
	global_atomic_pk_add_bf16 v84, v69, s[8:9] offset:256      // 000000006310: DD488100 00084554
	s_setvskip 0, 0                                            // 000000006318: BF108080
	s_setvskip s20, 3                                          // 00000000631C: BF108314
	global_atomic_pk_add_bf16 v86, v70, s[8:9]                 // 000000006320: DD488000 00084656
	s_setvskip 0, 0                                            // 000000006328: BF108080
	s_setvskip s20, 3                                          // 00000000632C: BF108314
	global_atomic_pk_add_bf16 v86, v71, s[8:9] offset:256      // 000000006330: DD488100 00084756
	s_setvskip 0, 0                                            // 000000006338: BF108080
	s_setvskip s20, 4                                          // 00000000633C: BF108414
	global_atomic_pk_add_bf16 v88, v72, s[8:9]                 // 000000006340: DD488000 00084858
	s_setvskip 0, 0                                            // 000000006348: BF108080
	s_setvskip s20, 4                                          // 00000000634C: BF108414
	global_atomic_pk_add_bf16 v88, v73, s[8:9] offset:256      // 000000006350: DD488100 00084958
	s_setvskip 0, 0                                            // 000000006358: BF108080
	s_setvskip s20, 5                                          // 00000000635C: BF108514
	global_atomic_pk_add_bf16 v90, v74, s[8:9]                 // 000000006360: DD488000 00084A5A
	s_setvskip 0, 0                                            // 000000006368: BF108080
	s_setvskip s20, 5                                          // 00000000636C: BF108514
	global_atomic_pk_add_bf16 v90, v75, s[8:9] offset:256      // 000000006370: DD488100 00084B5A
	s_setvskip 0, 0                                            // 000000006378: BF108080
	s_setvskip s20, 6                                          // 00000000637C: BF108614
	global_atomic_pk_add_bf16 v92, v76, s[8:9]                 // 000000006380: DD488000 00084C5C
	s_setvskip 0, 0                                            // 000000006388: BF108080
	s_setvskip s20, 6                                          // 00000000638C: BF108614
	global_atomic_pk_add_bf16 v92, v77, s[8:9] offset:256      // 000000006390: DD488100 00084D5C
	s_setvskip 0, 0                                            // 000000006398: BF108080
	s_setvskip s20, 7                                          // 00000000639C: BF108714
	global_atomic_pk_add_bf16 v94, v78, s[8:9]                 // 0000000063A0: DD488000 00084E5E
	s_setvskip 0, 0                                            // 0000000063A8: BF108080
	s_setvskip s20, 7                                          // 0000000063AC: BF108714
	global_atomic_pk_add_bf16 v94, v79, s[8:9] offset:256      // 0000000063B0: DD488100 00084F5E
	s_setvskip 0, 0                                            // 0000000063B8: BF108080
	s_add_u32 s8, s59, s8                                      // 0000000063BC: 8008083B
	s_addc_u32 s9, 0, s9                                       // 0000000063C0: 82090980
	s_addk_i32 s80, 0x100                                      // 0000000063C4: B7500100
	s_cmp_lt_i32 s80, s81                                      // 0000000063C8: BF045150
	s_cbranch_scc0 label_08A6                                  // 0000000063CC: BF84FB32
	s_waitcnt vmcnt(4) lgkmcnt(0)                              // 0000000063D0: BF8C0074
	s_barrier                                                  // 0000000063D4: BF8A0000
	v_mfma_f32_16x16x128_f8f6f4 v[160:163], a[32:39], v[96:103], 0// 0000000063D8: D3AD00A0 0A02C120
	buffer_load_dwordx4 a[0:3], v36, s[12:15], 0 offen         // 0000000063E0: E05C1000 80830024
	buffer_load_dwordx4 a[4:7], v36, s[12:15], 0 offen offset:1024// 0000000063E8: E05C1400 80830424
	v_mfma_f32_16x16x128_f8f6f4 v[164:167], a[32:39], v[104:111], 0// 0000000063F0: D3AD00A4 0A02D120
	ds_read_b32 v64, v5 offset:38400                           // 0000000063F8: D86C9600 40000005
	ds_read_b32 v65, v5 offset:42752                           // 000000006400: D86CA700 41000005
	ds_read_b32 v66, v5 offset:38408                           // 000000006408: D86C9608 42000005
	ds_read_b32 v67, v5 offset:42760                           // 000000006410: D86CA708 43000005
	v_mfma_f32_16x16x128_f8f6f4 v[168:171], a[40:47], v[96:103], 0// 000000006418: D3AD00A8 0A02C128
	buffer_load_dwordx4 a[8:11], v37, s[12:15], 0 offen        // 000000006420: E05C1000 80830825
	buffer_load_dwordx4 a[12:15], v37, s[12:15], 0 offen offset:1024// 000000006428: E05C1400 80830C25
	buffer_load_dword v23, v6, s[16:19], 0 offen               // 000000006430: E0501000 80041706
	v_mfma_f32_16x16x128_f8f6f4 v[172:175], a[40:47], v[104:111], 0// 000000006438: D3AD00AC 0A02D128
	ds_read_b32 v68, v5 offset:38432                           // 000000006440: D86C9620 44000005
	ds_read_b32 v69, v5 offset:42784                           // 000000006448: D86CA720 45000005
	ds_read_b32 v70, v5 offset:38440                           // 000000006450: D86C9628 46000005
	ds_read_b32 v71, v5 offset:42792                           // 000000006458: D86CA728 47000005
	s_waitcnt vmcnt(5)                                         // 000000006460: BF8C0F75
	v_mfma_f32_16x16x128_f8f6f4 v[176:179], a[48:55], v[96:103], 0// 000000006464: D3AD00B0 0A02C130
	buffer_load_dwordx4 a[16:19], v38, s[12:15], 0 offen       // 00000000646C: E05C1000 80831026
	buffer_load_dwordx4 a[20:23], v38, s[12:15], 0 offen offset:1024// 000000006474: E05C1400 80831426
	v_mfma_f32_16x16x128_f8f6f4 v[180:183], a[48:55], v[104:111], 0// 00000000647C: D3AD00B4 0A02D130
	ds_read_b32 v72, v5 offset:47104                           // 000000006484: D86CB800 48000005
	ds_read_b32 v73, v5 offset:51456                           // 00000000648C: D86CC900 49000005
	ds_read_b32 v74, v5 offset:47112                           // 000000006494: D86CB808 4A000005
	ds_read_b32 v75, v5 offset:51464                           // 00000000649C: D86CC908 4B000005
	ds_write_b64 v4, v[128:129] offset:20992                   // 0000000064A4: D89A5200 00008004
	ds_write_b64 v4, v[130:131] offset:29696                   // 0000000064AC: D89A7400 00008204
	ds_write_b64 v4, v[132:133] offset:23168                   // 0000000064B4: D89A5A80 00008404
	ds_write_b64 v4, v[134:135] offset:31872                   // 0000000064BC: D89A7C80 00008604
	v_mfma_f32_16x16x128_f8f6f4 v[184:187], a[56:63], v[96:103], 0// 0000000064C4: D3AD00B8 0A02C138
	buffer_load_dwordx4 a[24:27], v39, s[12:15], 0 offen       // 0000000064CC: E05C1000 80831827
	buffer_load_dwordx4 a[28:31], v39, s[12:15], 0 offen offset:1024// 0000000064D4: E05C1400 80831C27
	v_mfma_f32_16x16x128_f8f6f4 v[188:191], a[56:63], v[104:111], 0// 0000000064DC: D3AD00BC 0A02D138
	ds_read_b32 v76, v5 offset:47136                           // 0000000064E4: D86CB820 4C000005
	ds_read_b32 v77, v5 offset:51488                           // 0000000064EC: D86CC920 4D000005
	ds_read_b32 v78, v5 offset:47144                           // 0000000064F4: D86CB828 4E000005
	ds_read_b32 v79, v5 offset:51496                           // 0000000064FC: D86CC928 4F000005
	ds_write_b64 v4, v[136:137] offset:25344                   // 000000006504: D89A6300 00008804
	ds_write_b64 v4, v[138:139] offset:34048                   // 00000000650C: D89A8500 00008A04
	ds_write_b64 v4, v[140:141] offset:27520                   // 000000006514: D89A6B80 00008C04
	ds_write_b64 v4, v[142:143] offset:36224                   // 00000000651C: D89A8D80 00008E04
	v_mul_f32_dpp v44, v24, v30 row_newbcast:0 row_mask:0xf bank_mask:0xf// 000000006524: 0A583CFA FF015018
	v_mov_b32_e32 v45, v44                                     // 00000000652C: 7E5A032C
	v_pk_mul_f32 v[160:161], v[44:45], v[160:161]              // 000000006530: D3B140A0 1803412C
	v_pk_mul_f32 v[162:163], v[44:45], v[162:163]              // 000000006538: D3B140A2 1803452C
	v_pk_mul_f32 v[168:169], v[44:45], v[168:169]              // 000000006540: D3B140A8 1803512C
	v_pk_mul_f32 v[170:171], v[44:45], v[170:171]              // 000000006548: D3B140AA 1803552C
	v_mul_f32_dpp v44, v24, v30 row_newbcast:1 row_mask:0xf bank_mask:0xf// 000000006550: 0A583CFA FF015118
	v_mov_b32_e32 v45, v44                                     // 000000006558: 7E5A032C
	v_pk_mul_f32 v[176:177], v[44:45], v[176:177]              // 00000000655C: D3B140B0 1803612C
	v_pk_mul_f32 v[178:179], v[44:45], v[178:179]              // 000000006564: D3B140B2 1803652C
	v_pk_mul_f32 v[184:185], v[44:45], v[184:185]              // 00000000656C: D3B140B8 1803712C
	v_pk_mul_f32 v[186:187], v[44:45], v[186:187]              // 000000006574: D3B140BA 1803752C
	v_mul_f32_dpp v44, v24, v31 row_newbcast:0 row_mask:0xf bank_mask:0xf// 00000000657C: 0A583EFA FF015018
	v_mov_b32_e32 v45, v44                                     // 000000006584: 7E5A032C
	v_pk_mul_f32 v[164:165], v[44:45], v[164:165]              // 000000006588: D3B140A4 1803492C
	v_pk_mul_f32 v[166:167], v[44:45], v[166:167]              // 000000006590: D3B140A6 18034D2C
	v_pk_mul_f32 v[172:173], v[44:45], v[172:173]              // 000000006598: D3B140AC 1803592C
	v_pk_mul_f32 v[174:175], v[44:45], v[174:175]              // 0000000065A0: D3B140AE 18035D2C
	v_mul_f32_dpp v44, v24, v31 row_newbcast:1 row_mask:0xf bank_mask:0xf// 0000000065A8: 0A583EFA FF015118
	v_mov_b32_e32 v45, v44                                     // 0000000065B0: 7E5A032C
	v_pk_mul_f32 v[180:181], v[44:45], v[180:181]              // 0000000065B4: D3B140B4 1803692C
	v_pk_mul_f32 v[182:183], v[44:45], v[182:183]              // 0000000065BC: D3B140B6 18036D2C
	v_pk_mul_f32 v[188:189], v[44:45], v[188:189]              // 0000000065C4: D3B140BC 1803792C
	v_pk_mul_f32 v[190:191], v[44:45], v[190:191]              // 0000000065CC: D3B140BE 18037D2C
	s_add_u32 s60, 0x200, s80                                  // 0000000065D4: 803C50FF 00000200
	s_cmp_lt_u32 s60, s81                                      // 0000000065DC: BF0A513C
	s_cselect_b32 s56, s56, 0                                  // 0000000065E0: 85388038
	s_cselect_b32 s78, s78, 0                                  // 0000000065E4: 854E804E
	s_cselect_b32 s79, s79, 0                                  // 0000000065E8: 854F804F
	s_add_u32 s12, s56, s12                                    // 0000000065EC: 800C0C38
	s_addc_u32 s13, 0, s13                                     // 0000000065F0: 820D0D80
	s_add_u32 s16, s79, s16                                    // 0000000065F4: 8010104F
	s_addc_u32 s17, 0, s17                                     // 0000000065F8: 82111180
	v_mov_b32_e32 v44, v25                                     // 0000000065FC: 7E580319
	v_mov_b32_e32 v45, v25                                     // 000000006600: 7E5A0319
	v_pk_mul_f32 v[160:161], v[44:45], v[160:161]              // 000000006604: D3B140A0 1803412C
	v_pk_mul_f32 v[162:163], v[44:45], v[162:163]              // 00000000660C: D3B140A2 1803452C
	v_pk_mul_f32 v[168:169], v[44:45], v[168:169]              // 000000006614: D3B140A8 1803512C
	v_pk_mul_f32 v[170:171], v[44:45], v[170:171]              // 00000000661C: D3B140AA 1803552C
	v_pk_mul_f32 v[176:177], v[44:45], v[176:177]              // 000000006624: D3B140B0 1803612C
	v_pk_mul_f32 v[178:179], v[44:45], v[178:179]              // 00000000662C: D3B140B2 1803652C
	v_pk_mul_f32 v[184:185], v[44:45], v[184:185]              // 000000006634: D3B140B8 1803712C
	v_pk_mul_f32 v[186:187], v[44:45], v[186:187]              // 00000000663C: D3B140BA 1803752C
	v_mov_b32_e32 v44, v26                                     // 000000006644: 7E58031A
	v_mov_b32_e32 v45, v26                                     // 000000006648: 7E5A031A
	v_pk_mul_f32 v[164:165], v[44:45], v[164:165]              // 00000000664C: D3B140A4 1803492C
	v_pk_mul_f32 v[166:167], v[44:45], v[166:167]              // 000000006654: D3B140A6 18034D2C
	v_pk_mul_f32 v[172:173], v[44:45], v[172:173]              // 00000000665C: D3B140AC 1803592C
	v_pk_mul_f32 v[174:175], v[44:45], v[174:175]              // 000000006664: D3B140AE 18035D2C
	v_pk_mul_f32 v[180:181], v[44:45], v[180:181]              // 00000000666C: D3B140B4 1803692C
	v_pk_mul_f32 v[182:183], v[44:45], v[182:183]              // 000000006674: D3B140B6 18036D2C
	v_pk_mul_f32 v[188:189], v[44:45], v[188:189]              // 00000000667C: D3B140BC 1803792C
	v_pk_mul_f32 v[190:191], v[44:45], v[190:191]              // 000000006684: D3B140BE 18037D2C
	v_cvt_pk_bf16_f32 v160, v160, v161                         // 00000000668C: D26800A0 000343A0
	v_cvt_pk_bf16_f32 v161, v162, v163                         // 000000006694: D26800A1 000347A2
	v_cvt_pk_bf16_f32 v162, v164, v165                         // 00000000669C: D26800A2 00034BA4
	v_cvt_pk_bf16_f32 v163, v166, v167                         // 0000000066A4: D26800A3 00034FA6
	v_cvt_pk_bf16_f32 v164, v168, v169                         // 0000000066AC: D26800A4 000353A8
	v_cvt_pk_bf16_f32 v165, v170, v171                         // 0000000066B4: D26800A5 000357AA
	v_cvt_pk_bf16_f32 v166, v172, v173                         // 0000000066BC: D26800A6 00035BAC
	v_cvt_pk_bf16_f32 v167, v174, v175                         // 0000000066C4: D26800A7 00035FAE
	v_cvt_pk_bf16_f32 v168, v176, v177                         // 0000000066CC: D26800A8 000363B0
	v_cvt_pk_bf16_f32 v169, v178, v179                         // 0000000066D4: D26800A9 000367B2
	v_cvt_pk_bf16_f32 v170, v180, v181                         // 0000000066DC: D26800AA 00036BB4
	v_cvt_pk_bf16_f32 v171, v182, v183                         // 0000000066E4: D26800AB 00036FB6
	v_cvt_pk_bf16_f32 v172, v184, v185                         // 0000000066EC: D26800AC 000373B8
	v_cvt_pk_bf16_f32 v173, v186, v187                         // 0000000066F4: D26800AD 000377BA
	v_cvt_pk_bf16_f32 v174, v188, v189                         // 0000000066FC: D26800AE 00037BBC
	v_cvt_pk_bf16_f32 v175, v190, v191                         // 000000006704: D26800AF 00037FBE
	s_cmp_ge_u32 s80, 0x200                                    // 00000000670C: BF09FF50 00000200
	s_cselect_b32 s59, 0x200, s59                              // 000000006714: 853B3BFF 00000200
	s_setvskip s20, 0                                          // 00000000671C: BF108014
	global_atomic_pk_add_bf16 v80, v64, s[8:9]                 // 000000006720: DD488000 00084050
	s_setvskip 0, 0                                            // 000000006728: BF108080
	s_setvskip s20, 0                                          // 00000000672C: BF108014
	global_atomic_pk_add_bf16 v80, v65, s[8:9] offset:256      // 000000006730: DD488100 00084150
	s_setvskip 0, 0                                            // 000000006738: BF108080
	s_setvskip s20, 1                                          // 00000000673C: BF108114
	global_atomic_pk_add_bf16 v82, v66, s[8:9]                 // 000000006740: DD488000 00084252
	s_setvskip 0, 0                                            // 000000006748: BF108080
	s_setvskip s20, 1                                          // 00000000674C: BF108114
	global_atomic_pk_add_bf16 v82, v67, s[8:9] offset:256      // 000000006750: DD488100 00084352
	s_setvskip 0, 0                                            // 000000006758: BF108080
	s_setvskip s20, 2                                          // 00000000675C: BF108214
	global_atomic_pk_add_bf16 v84, v68, s[8:9]                 // 000000006760: DD488000 00084454
	s_setvskip 0, 0                                            // 000000006768: BF108080
	s_setvskip s20, 2                                          // 00000000676C: BF108214
	global_atomic_pk_add_bf16 v84, v69, s[8:9] offset:256      // 000000006770: DD488100 00084554
	s_setvskip 0, 0                                            // 000000006778: BF108080
	s_setvskip s20, 3                                          // 00000000677C: BF108314
	global_atomic_pk_add_bf16 v86, v70, s[8:9]                 // 000000006780: DD488000 00084656
	s_setvskip 0, 0                                            // 000000006788: BF108080
	s_setvskip s20, 3                                          // 00000000678C: BF108314
	global_atomic_pk_add_bf16 v86, v71, s[8:9] offset:256      // 000000006790: DD488100 00084756
	s_setvskip 0, 0                                            // 000000006798: BF108080
	s_setvskip s20, 4                                          // 00000000679C: BF108414
	global_atomic_pk_add_bf16 v88, v72, s[8:9]                 // 0000000067A0: DD488000 00084858
	s_setvskip 0, 0                                            // 0000000067A8: BF108080
	s_setvskip s20, 4                                          // 0000000067AC: BF108414
	global_atomic_pk_add_bf16 v88, v73, s[8:9] offset:256      // 0000000067B0: DD488100 00084958
	s_setvskip 0, 0                                            // 0000000067B8: BF108080
	s_setvskip s20, 5                                          // 0000000067BC: BF108514
	global_atomic_pk_add_bf16 v90, v74, s[8:9]                 // 0000000067C0: DD488000 00084A5A
	s_setvskip 0, 0                                            // 0000000067C8: BF108080
	s_setvskip s20, 5                                          // 0000000067CC: BF108514
	global_atomic_pk_add_bf16 v90, v75, s[8:9] offset:256      // 0000000067D0: DD488100 00084B5A
	s_setvskip 0, 0                                            // 0000000067D8: BF108080
	s_setvskip s20, 6                                          // 0000000067DC: BF108614
	global_atomic_pk_add_bf16 v92, v76, s[8:9]                 // 0000000067E0: DD488000 00084C5C
	s_setvskip 0, 0                                            // 0000000067E8: BF108080
	s_setvskip s20, 6                                          // 0000000067EC: BF108614
	global_atomic_pk_add_bf16 v92, v77, s[8:9] offset:256      // 0000000067F0: DD488100 00084D5C
	s_setvskip 0, 0                                            // 0000000067F8: BF108080
	s_setvskip s20, 7                                          // 0000000067FC: BF108714
	global_atomic_pk_add_bf16 v94, v78, s[8:9]                 // 000000006800: DD488000 00084E5E
	s_setvskip 0, 0                                            // 000000006808: BF108080
	s_setvskip s20, 7                                          // 00000000680C: BF108714
	global_atomic_pk_add_bf16 v94, v79, s[8:9] offset:256      // 000000006810: DD488100 00084F5E
	s_setvskip 0, 0                                            // 000000006818: BF108080
	s_add_u32 s8, s59, s8                                      // 00000000681C: 8008083B
	s_addc_u32 s9, 0, s9                                       // 000000006820: 82090980
	s_addk_i32 s80, 0x100                                      // 000000006824: B7500100
	s_cmp_lt_i32 s80, s81                                      // 000000006828: BF045150
	s_cbranch_scc0 label_08A6                                  // 00000000682C: BF84FA1A
	s_branch label_0C5C                                        // 000000006830: BF82FDCF

0000000000006834 <label_0E8D>:
	s_cmp_ge_u32 s59, 0                                        // 000000006834: BF09803B
	s_cselect_b32 s59, 0x200, s59                              // 000000006838: 853B3BFF 00000200
	s_waitcnt lgkmcnt(0)                                       // 000000006840: BF8CC07F
	s_barrier                                                  // 000000006844: BF8A0000
	s_cmp_eq_u32 s64, 0x100                                    // 000000006848: BF06FF40 00000100
	s_cbranch_scc0 label_0F09                                  // 000000006850: BF840074
	ds_write_b64 v4, v[128:129] offset:20992                   // 000000006854: D89A5200 00008004
	ds_write_b64 v4, v[130:131] offset:29696                   // 00000000685C: D89A7400 00008204
	ds_write_b64 v4, v[132:133] offset:23168                   // 000000006864: D89A5A80 00008404
	ds_write_b64 v4, v[134:135] offset:31872                   // 00000000686C: D89A7C80 00008604
	ds_write_b64 v4, v[136:137] offset:25344                   // 000000006874: D89A6300 00008804
	ds_write_b64 v4, v[138:139] offset:34048                   // 00000000687C: D89A8500 00008A04
	ds_write_b64 v4, v[140:141] offset:27520                   // 000000006884: D89A6B80 00008C04
	ds_write_b64 v4, v[142:143] offset:36224                   // 00000000688C: D89A8D80 00008E04
	s_waitcnt lgkmcnt(0)                                       // 000000006894: BF8CC07F
	s_barrier                                                  // 000000006898: BF8A0000
	ds_read_b32 v64, v5 offset:20992                           // 00000000689C: D86C5200 40000005
	ds_read_b32 v65, v5 offset:25344                           // 0000000068A4: D86C6300 41000005
	ds_read_b32 v66, v5 offset:21000                           // 0000000068AC: D86C5208 42000005
	ds_read_b32 v67, v5 offset:25352                           // 0000000068B4: D86C6308 43000005
	ds_read_b32 v68, v5 offset:21024                           // 0000000068BC: D86C5220 44000005
	ds_read_b32 v69, v5 offset:25376                           // 0000000068C4: D86C6320 45000005
	ds_read_b32 v70, v5 offset:21032                           // 0000000068CC: D86C5228 46000005
	ds_read_b32 v71, v5 offset:25384                           // 0000000068D4: D86C6328 47000005
	ds_read_b32 v72, v5 offset:29696                           // 0000000068DC: D86C7400 48000005
	ds_read_b32 v73, v5 offset:34048                           // 0000000068E4: D86C8500 49000005
	ds_read_b32 v74, v5 offset:29704                           // 0000000068EC: D86C7408 4A000005
	ds_read_b32 v75, v5 offset:34056                           // 0000000068F4: D86C8508 4B000005
	ds_read_b32 v76, v5 offset:29728                           // 0000000068FC: D86C7420 4C000005
	ds_read_b32 v77, v5 offset:34080                           // 000000006904: D86C8520 4D000005
	ds_read_b32 v78, v5 offset:29736                           // 00000000690C: D86C7428 4E000005
	ds_read_b32 v79, v5 offset:34088                           // 000000006914: D86C8528 4F000005
	s_waitcnt lgkmcnt(0)                                       // 00000000691C: BF8CC07F
	s_setvskip s20, 0                                          // 000000006920: BF108014
	global_atomic_pk_add_bf16 v80, v64, s[8:9]                 // 000000006924: DD488000 00084050
	s_setvskip 0, 0                                            // 00000000692C: BF108080
	s_setvskip s20, 0                                          // 000000006930: BF108014
	global_atomic_pk_add_bf16 v80, v65, s[8:9] offset:256      // 000000006934: DD488100 00084150
	s_setvskip 0, 0                                            // 00000000693C: BF108080
	s_setvskip s20, 1                                          // 000000006940: BF108114
	global_atomic_pk_add_bf16 v82, v66, s[8:9]                 // 000000006944: DD488000 00084252
	s_setvskip 0, 0                                            // 00000000694C: BF108080
	s_setvskip s20, 1                                          // 000000006950: BF108114
	global_atomic_pk_add_bf16 v82, v67, s[8:9] offset:256      // 000000006954: DD488100 00084352
	s_setvskip 0, 0                                            // 00000000695C: BF108080
	s_setvskip s20, 2                                          // 000000006960: BF108214
	global_atomic_pk_add_bf16 v84, v68, s[8:9]                 // 000000006964: DD488000 00084454
	s_setvskip 0, 0                                            // 00000000696C: BF108080
	s_setvskip s20, 2                                          // 000000006970: BF108214
	global_atomic_pk_add_bf16 v84, v69, s[8:9] offset:256      // 000000006974: DD488100 00084554
	s_setvskip 0, 0                                            // 00000000697C: BF108080
	s_setvskip s20, 3                                          // 000000006980: BF108314
	global_atomic_pk_add_bf16 v86, v70, s[8:9]                 // 000000006984: DD488000 00084656
	s_setvskip 0, 0                                            // 00000000698C: BF108080
	s_setvskip s20, 3                                          // 000000006990: BF108314
	global_atomic_pk_add_bf16 v86, v71, s[8:9] offset:256      // 000000006994: DD488100 00084756
	s_setvskip 0, 0                                            // 00000000699C: BF108080
	s_setvskip s20, 4                                          // 0000000069A0: BF108414
	global_atomic_pk_add_bf16 v88, v72, s[8:9]                 // 0000000069A4: DD488000 00084858
	s_setvskip 0, 0                                            // 0000000069AC: BF108080
	s_setvskip s20, 4                                          // 0000000069B0: BF108414
	global_atomic_pk_add_bf16 v88, v73, s[8:9] offset:256      // 0000000069B4: DD488100 00084958
	s_setvskip 0, 0                                            // 0000000069BC: BF108080
	s_setvskip s20, 5                                          // 0000000069C0: BF108514
	global_atomic_pk_add_bf16 v90, v74, s[8:9]                 // 0000000069C4: DD488000 00084A5A
	s_setvskip 0, 0                                            // 0000000069CC: BF108080
	s_setvskip s20, 5                                          // 0000000069D0: BF108514
	global_atomic_pk_add_bf16 v90, v75, s[8:9] offset:256      // 0000000069D4: DD488100 00084B5A
	s_setvskip 0, 0                                            // 0000000069DC: BF108080
	s_setvskip s20, 6                                          // 0000000069E0: BF108614
	global_atomic_pk_add_bf16 v92, v76, s[8:9]                 // 0000000069E4: DD488000 00084C5C
	s_setvskip 0, 0                                            // 0000000069EC: BF108080
	s_setvskip s20, 6                                          // 0000000069F0: BF108614
	global_atomic_pk_add_bf16 v92, v77, s[8:9] offset:256      // 0000000069F4: DD488100 00084D5C
	s_setvskip 0, 0                                            // 0000000069FC: BF108080
	s_setvskip s20, 7                                          // 000000006A00: BF108714
	global_atomic_pk_add_bf16 v94, v78, s[8:9]                 // 000000006A04: DD488000 00084E5E
	s_setvskip 0, 0                                            // 000000006A0C: BF108080
	s_setvskip s20, 7                                          // 000000006A10: BF108714
	global_atomic_pk_add_bf16 v94, v79, s[8:9] offset:256      // 000000006A14: DD488100 00084F5E
	s_setvskip 0, 0                                            // 000000006A1C: BF108080
	s_branch label_0FDF                                        // 000000006A20: BF8200D6

0000000000006a24 <label_0F09>:
	ds_read_b32 v64, v5 offset:20992                           // 000000006A24: D86C5200 40000005
	ds_read_b32 v65, v5 offset:25344                           // 000000006A2C: D86C6300 41000005
	ds_read_b32 v66, v5 offset:21000                           // 000000006A34: D86C5208 42000005
	ds_read_b32 v67, v5 offset:25352                           // 000000006A3C: D86C6308 43000005
	ds_read_b32 v68, v5 offset:21024                           // 000000006A44: D86C5220 44000005
	ds_read_b32 v69, v5 offset:25376                           // 000000006A4C: D86C6320 45000005
	ds_read_b32 v70, v5 offset:21032                           // 000000006A54: D86C5228 46000005
	ds_read_b32 v71, v5 offset:25384                           // 000000006A5C: D86C6328 47000005
	ds_read_b32 v72, v5 offset:29696                           // 000000006A64: D86C7400 48000005
	ds_read_b32 v73, v5 offset:34048                           // 000000006A6C: D86C8500 49000005
	ds_read_b32 v74, v5 offset:29704                           // 000000006A74: D86C7408 4A000005
	ds_read_b32 v75, v5 offset:34056                           // 000000006A7C: D86C8508 4B000005
	ds_read_b32 v76, v5 offset:29728                           // 000000006A84: D86C7420 4C000005
	ds_read_b32 v77, v5 offset:34080                           // 000000006A8C: D86C8520 4D000005
	ds_read_b32 v78, v5 offset:29736                           // 000000006A94: D86C7428 4E000005
	ds_read_b32 v79, v5 offset:34088                           // 000000006A9C: D86C8528 4F000005
	s_waitcnt lgkmcnt(0)                                       // 000000006AA4: BF8CC07F
	s_setvskip s20, 0                                          // 000000006AA8: BF108014
	global_atomic_pk_add_bf16 v80, v64, s[8:9]                 // 000000006AAC: DD488000 00084050
	s_setvskip 0, 0                                            // 000000006AB4: BF108080
	s_setvskip s20, 0                                          // 000000006AB8: BF108014
	global_atomic_pk_add_bf16 v80, v65, s[8:9] offset:256      // 000000006ABC: DD488100 00084150
	s_setvskip 0, 0                                            // 000000006AC4: BF108080
	s_setvskip s20, 1                                          // 000000006AC8: BF108114
	global_atomic_pk_add_bf16 v82, v66, s[8:9]                 // 000000006ACC: DD488000 00084252
	s_setvskip 0, 0                                            // 000000006AD4: BF108080
	s_setvskip s20, 1                                          // 000000006AD8: BF108114
	global_atomic_pk_add_bf16 v82, v67, s[8:9] offset:256      // 000000006ADC: DD488100 00084352
	s_setvskip 0, 0                                            // 000000006AE4: BF108080
	s_setvskip s20, 2                                          // 000000006AE8: BF108214
	global_atomic_pk_add_bf16 v84, v68, s[8:9]                 // 000000006AEC: DD488000 00084454
	s_setvskip 0, 0                                            // 000000006AF4: BF108080
	s_setvskip s20, 2                                          // 000000006AF8: BF108214
	global_atomic_pk_add_bf16 v84, v69, s[8:9] offset:256      // 000000006AFC: DD488100 00084554
	s_setvskip 0, 0                                            // 000000006B04: BF108080
	s_setvskip s20, 3                                          // 000000006B08: BF108314
	global_atomic_pk_add_bf16 v86, v70, s[8:9]                 // 000000006B0C: DD488000 00084656
	s_setvskip 0, 0                                            // 000000006B14: BF108080
	s_setvskip s20, 3                                          // 000000006B18: BF108314
	global_atomic_pk_add_bf16 v86, v71, s[8:9] offset:256      // 000000006B1C: DD488100 00084756
	s_setvskip 0, 0                                            // 000000006B24: BF108080
	s_setvskip s20, 4                                          // 000000006B28: BF108414
	global_atomic_pk_add_bf16 v88, v72, s[8:9]                 // 000000006B2C: DD488000 00084858
	s_setvskip 0, 0                                            // 000000006B34: BF108080
	s_setvskip s20, 4                                          // 000000006B38: BF108414
	global_atomic_pk_add_bf16 v88, v73, s[8:9] offset:256      // 000000006B3C: DD488100 00084958
	s_setvskip 0, 0                                            // 000000006B44: BF108080
	s_setvskip s20, 5                                          // 000000006B48: BF108514
	global_atomic_pk_add_bf16 v90, v74, s[8:9]                 // 000000006B4C: DD488000 00084A5A
	s_setvskip 0, 0                                            // 000000006B54: BF108080
	s_setvskip s20, 5                                          // 000000006B58: BF108514
	global_atomic_pk_add_bf16 v90, v75, s[8:9] offset:256      // 000000006B5C: DD488100 00084B5A
	s_setvskip 0, 0                                            // 000000006B64: BF108080
	s_setvskip s20, 6                                          // 000000006B68: BF108614
	global_atomic_pk_add_bf16 v92, v76, s[8:9]                 // 000000006B6C: DD488000 00084C5C
	s_setvskip 0, 0                                            // 000000006B74: BF108080
	s_setvskip s20, 6                                          // 000000006B78: BF108614
	global_atomic_pk_add_bf16 v92, v77, s[8:9] offset:256      // 000000006B7C: DD488100 00084D5C
	s_setvskip 0, 0                                            // 000000006B84: BF108080
	s_setvskip s20, 7                                          // 000000006B88: BF108714
	global_atomic_pk_add_bf16 v94, v78, s[8:9]                 // 000000006B8C: DD488000 00084E5E
	s_setvskip 0, 0                                            // 000000006B94: BF108080
	s_setvskip s20, 7                                          // 000000006B98: BF108714
	global_atomic_pk_add_bf16 v94, v79, s[8:9] offset:256      // 000000006B9C: DD488100 00084F5E
	s_setvskip 0, 0                                            // 000000006BA4: BF108080
	s_add_u32 s8, s59, s8                                      // 000000006BA8: 8008083B
	s_addc_u32 s9, 0, s9                                       // 000000006BAC: 82090980
	ds_write_b64 v4, v[160:161] offset:38400                   // 000000006BB0: D89A9600 0000A004
	ds_write_b64 v4, v[162:163] offset:47104                   // 000000006BB8: D89AB800 0000A204
	ds_write_b64 v4, v[164:165] offset:40576                   // 000000006BC0: D89A9E80 0000A404
	ds_write_b64 v4, v[166:167] offset:49280                   // 000000006BC8: D89AC080 0000A604
	ds_write_b64 v4, v[168:169] offset:42752                   // 000000006BD0: D89AA700 0000A804
	ds_write_b64 v4, v[170:171] offset:51456                   // 000000006BD8: D89AC900 0000AA04
	ds_write_b64 v4, v[172:173] offset:44928                   // 000000006BE0: D89AAF80 0000AC04
	ds_write_b64 v4, v[174:175] offset:53632                   // 000000006BE8: D89AD180 0000AE04
	s_waitcnt lgkmcnt(0)                                       // 000000006BF0: BF8CC07F
	s_barrier                                                  // 000000006BF4: BF8A0000
	ds_read_b32 v64, v5 offset:38400                           // 000000006BF8: D86C9600 40000005
	ds_read_b32 v65, v5 offset:42752                           // 000000006C00: D86CA700 41000005
	ds_read_b32 v66, v5 offset:38408                           // 000000006C08: D86C9608 42000005
	ds_read_b32 v67, v5 offset:42760                           // 000000006C10: D86CA708 43000005
	ds_read_b32 v68, v5 offset:38432                           // 000000006C18: D86C9620 44000005
	ds_read_b32 v69, v5 offset:42784                           // 000000006C20: D86CA720 45000005
	ds_read_b32 v70, v5 offset:38440                           // 000000006C28: D86C9628 46000005
	ds_read_b32 v71, v5 offset:42792                           // 000000006C30: D86CA728 47000005
	ds_read_b32 v72, v5 offset:47104                           // 000000006C38: D86CB800 48000005
	ds_read_b32 v73, v5 offset:51456                           // 000000006C40: D86CC900 49000005
	ds_read_b32 v74, v5 offset:47112                           // 000000006C48: D86CB808 4A000005
	ds_read_b32 v75, v5 offset:51464                           // 000000006C50: D86CC908 4B000005
	ds_read_b32 v76, v5 offset:47136                           // 000000006C58: D86CB820 4C000005
	ds_read_b32 v77, v5 offset:51488                           // 000000006C60: D86CC920 4D000005
	ds_read_b32 v78, v5 offset:47144                           // 000000006C68: D86CB828 4E000005
	ds_read_b32 v79, v5 offset:51496                           // 000000006C70: D86CC928 4F000005
	s_waitcnt lgkmcnt(0)                                       // 000000006C78: BF8CC07F
	s_setvskip s20, 0                                          // 000000006C7C: BF108014
	global_atomic_pk_add_bf16 v80, v64, s[8:9]                 // 000000006C80: DD488000 00084050
	s_setvskip 0, 0                                            // 000000006C88: BF108080
	s_setvskip s20, 0                                          // 000000006C8C: BF108014
	global_atomic_pk_add_bf16 v80, v65, s[8:9] offset:256      // 000000006C90: DD488100 00084150
	s_setvskip 0, 0                                            // 000000006C98: BF108080
	s_setvskip s20, 1                                          // 000000006C9C: BF108114
	global_atomic_pk_add_bf16 v82, v66, s[8:9]                 // 000000006CA0: DD488000 00084252
	s_setvskip 0, 0                                            // 000000006CA8: BF108080
	s_setvskip s20, 1                                          // 000000006CAC: BF108114
	global_atomic_pk_add_bf16 v82, v67, s[8:9] offset:256      // 000000006CB0: DD488100 00084352
	s_setvskip 0, 0                                            // 000000006CB8: BF108080
	s_setvskip s20, 2                                          // 000000006CBC: BF108214
	global_atomic_pk_add_bf16 v84, v68, s[8:9]                 // 000000006CC0: DD488000 00084454
	s_setvskip 0, 0                                            // 000000006CC8: BF108080
	s_setvskip s20, 2                                          // 000000006CCC: BF108214
	global_atomic_pk_add_bf16 v84, v69, s[8:9] offset:256      // 000000006CD0: DD488100 00084554
	s_setvskip 0, 0                                            // 000000006CD8: BF108080
	s_setvskip s20, 3                                          // 000000006CDC: BF108314
	global_atomic_pk_add_bf16 v86, v70, s[8:9]                 // 000000006CE0: DD488000 00084656
	s_setvskip 0, 0                                            // 000000006CE8: BF108080
	s_setvskip s20, 3                                          // 000000006CEC: BF108314
	global_atomic_pk_add_bf16 v86, v71, s[8:9] offset:256      // 000000006CF0: DD488100 00084756
	s_setvskip 0, 0                                            // 000000006CF8: BF108080
	s_setvskip s20, 4                                          // 000000006CFC: BF108414
	global_atomic_pk_add_bf16 v88, v72, s[8:9]                 // 000000006D00: DD488000 00084858
	s_setvskip 0, 0                                            // 000000006D08: BF108080
	s_setvskip s20, 4                                          // 000000006D0C: BF108414
	global_atomic_pk_add_bf16 v88, v73, s[8:9] offset:256      // 000000006D10: DD488100 00084958
	s_setvskip 0, 0                                            // 000000006D18: BF108080
	s_setvskip s20, 5                                          // 000000006D1C: BF108514
	global_atomic_pk_add_bf16 v90, v74, s[8:9]                 // 000000006D20: DD488000 00084A5A
	s_setvskip 0, 0                                            // 000000006D28: BF108080
	s_setvskip s20, 5                                          // 000000006D2C: BF108514
	global_atomic_pk_add_bf16 v90, v75, s[8:9] offset:256      // 000000006D30: DD488100 00084B5A
	s_setvskip 0, 0                                            // 000000006D38: BF108080
	s_setvskip s20, 6                                          // 000000006D3C: BF108614
	global_atomic_pk_add_bf16 v92, v76, s[8:9]                 // 000000006D40: DD488000 00084C5C
	s_setvskip 0, 0                                            // 000000006D48: BF108080
	s_setvskip s20, 6                                          // 000000006D4C: BF108614
	global_atomic_pk_add_bf16 v92, v77, s[8:9] offset:256      // 000000006D50: DD488100 00084D5C
	s_setvskip 0, 0                                            // 000000006D58: BF108080
	s_setvskip s20, 7                                          // 000000006D5C: BF108714
	global_atomic_pk_add_bf16 v94, v78, s[8:9]                 // 000000006D60: DD488000 00084E5E
	s_setvskip 0, 0                                            // 000000006D68: BF108080
	s_setvskip s20, 7                                          // 000000006D6C: BF108714
	global_atomic_pk_add_bf16 v94, v79, s[8:9] offset:256      // 000000006D70: DD488100 00084F5E
	s_setvskip 0, 0                                            // 000000006D78: BF108080

0000000000006d7c <label_0FDF>:
	s_waitcnt vmcnt(0) expcnt(0) lgkmcnt(0)                    // 000000006D7C: BF8C0000
	s_add_u32 s100, s100, 1                                    // 000000006D80: 80648164
	s_cmp_eq_u32 s96, 0                                        // 000000006D84: BF068060
	s_cbranch_scc0 label_0039                                  // 000000006D88: BF84F056

0000000000006d8c <label_0FE3>:
	s_waitcnt vmcnt(0) expcnt(0) lgkmcnt(0)                    // 000000006D8C: BF8C0000
	s_endpgm                                                   // 000000006D90: BF810000
